;; amdgpu-corpus repo=ROCm/rocFFT kind=compiled arch=gfx1030 opt=O3
	.text
	.amdgcn_target "amdgcn-amd-amdhsa--gfx1030"
	.amdhsa_code_object_version 6
	.protected	fft_rtc_fwd_len1092_factors_2_2_13_7_3_wgs_52_tpt_52_halfLds_half_ip_CI_unitstride_sbrr_R2C_dirReg ; -- Begin function fft_rtc_fwd_len1092_factors_2_2_13_7_3_wgs_52_tpt_52_halfLds_half_ip_CI_unitstride_sbrr_R2C_dirReg
	.globl	fft_rtc_fwd_len1092_factors_2_2_13_7_3_wgs_52_tpt_52_halfLds_half_ip_CI_unitstride_sbrr_R2C_dirReg
	.p2align	8
	.type	fft_rtc_fwd_len1092_factors_2_2_13_7_3_wgs_52_tpt_52_halfLds_half_ip_CI_unitstride_sbrr_R2C_dirReg,@function
fft_rtc_fwd_len1092_factors_2_2_13_7_3_wgs_52_tpt_52_halfLds_half_ip_CI_unitstride_sbrr_R2C_dirReg: ; @fft_rtc_fwd_len1092_factors_2_2_13_7_3_wgs_52_tpt_52_halfLds_half_ip_CI_unitstride_sbrr_R2C_dirReg
; %bb.0:
	s_clause 0x2
	s_load_dwordx4 s[8:11], s[4:5], 0x0
	s_load_dwordx2 s[2:3], s[4:5], 0x50
	s_load_dwordx2 s[12:13], s[4:5], 0x18
	v_mul_u32_u24_e32 v1, 0x4ed, v0
	v_mov_b32_e32 v3, 0
	v_add_nc_u32_sdwa v5, s6, v1 dst_sel:DWORD dst_unused:UNUSED_PAD src0_sel:DWORD src1_sel:WORD_1
	v_mov_b32_e32 v1, 0
	v_mov_b32_e32 v6, v3
	v_mov_b32_e32 v2, 0
	s_waitcnt lgkmcnt(0)
	v_cmp_lt_u64_e64 s0, s[10:11], 2
	s_and_b32 vcc_lo, exec_lo, s0
	s_cbranch_vccnz .LBB0_8
; %bb.1:
	s_load_dwordx2 s[0:1], s[4:5], 0x10
	v_mov_b32_e32 v1, 0
	s_add_u32 s6, s12, 8
	v_mov_b32_e32 v2, 0
	s_addc_u32 s7, s13, 0
	s_mov_b64 s[16:17], 1
	s_waitcnt lgkmcnt(0)
	s_add_u32 s14, s0, 8
	s_addc_u32 s15, s1, 0
.LBB0_2:                                ; =>This Inner Loop Header: Depth=1
	s_load_dwordx2 s[18:19], s[14:15], 0x0
                                        ; implicit-def: $vgpr7_vgpr8
	s_mov_b32 s0, exec_lo
	s_waitcnt lgkmcnt(0)
	v_or_b32_e32 v4, s19, v6
	v_cmpx_ne_u64_e32 0, v[3:4]
	s_xor_b32 s1, exec_lo, s0
	s_cbranch_execz .LBB0_4
; %bb.3:                                ;   in Loop: Header=BB0_2 Depth=1
	v_cvt_f32_u32_e32 v4, s18
	v_cvt_f32_u32_e32 v7, s19
	s_sub_u32 s0, 0, s18
	s_subb_u32 s20, 0, s19
	v_fmac_f32_e32 v4, 0x4f800000, v7
	v_rcp_f32_e32 v4, v4
	v_mul_f32_e32 v4, 0x5f7ffffc, v4
	v_mul_f32_e32 v7, 0x2f800000, v4
	v_trunc_f32_e32 v7, v7
	v_fmac_f32_e32 v4, 0xcf800000, v7
	v_cvt_u32_f32_e32 v7, v7
	v_cvt_u32_f32_e32 v4, v4
	v_mul_lo_u32 v8, s0, v7
	v_mul_hi_u32 v9, s0, v4
	v_mul_lo_u32 v10, s20, v4
	v_add_nc_u32_e32 v8, v9, v8
	v_mul_lo_u32 v9, s0, v4
	v_add_nc_u32_e32 v8, v8, v10
	v_mul_hi_u32 v10, v4, v9
	v_mul_lo_u32 v11, v4, v8
	v_mul_hi_u32 v12, v4, v8
	v_mul_hi_u32 v13, v7, v9
	v_mul_lo_u32 v9, v7, v9
	v_mul_hi_u32 v14, v7, v8
	v_mul_lo_u32 v8, v7, v8
	v_add_co_u32 v10, vcc_lo, v10, v11
	v_add_co_ci_u32_e32 v11, vcc_lo, 0, v12, vcc_lo
	v_add_co_u32 v9, vcc_lo, v10, v9
	v_add_co_ci_u32_e32 v9, vcc_lo, v11, v13, vcc_lo
	v_add_co_ci_u32_e32 v10, vcc_lo, 0, v14, vcc_lo
	v_add_co_u32 v8, vcc_lo, v9, v8
	v_add_co_ci_u32_e32 v9, vcc_lo, 0, v10, vcc_lo
	v_add_co_u32 v4, vcc_lo, v4, v8
	v_add_co_ci_u32_e32 v7, vcc_lo, v7, v9, vcc_lo
	v_mul_hi_u32 v8, s0, v4
	v_mul_lo_u32 v10, s20, v4
	v_mul_lo_u32 v9, s0, v7
	v_add_nc_u32_e32 v8, v8, v9
	v_mul_lo_u32 v9, s0, v4
	v_add_nc_u32_e32 v8, v8, v10
	v_mul_hi_u32 v10, v4, v9
	v_mul_lo_u32 v11, v4, v8
	v_mul_hi_u32 v12, v4, v8
	v_mul_hi_u32 v13, v7, v9
	v_mul_lo_u32 v9, v7, v9
	v_mul_hi_u32 v14, v7, v8
	v_mul_lo_u32 v8, v7, v8
	v_add_co_u32 v10, vcc_lo, v10, v11
	v_add_co_ci_u32_e32 v11, vcc_lo, 0, v12, vcc_lo
	v_add_co_u32 v9, vcc_lo, v10, v9
	v_add_co_ci_u32_e32 v9, vcc_lo, v11, v13, vcc_lo
	v_add_co_ci_u32_e32 v10, vcc_lo, 0, v14, vcc_lo
	v_add_co_u32 v8, vcc_lo, v9, v8
	v_add_co_ci_u32_e32 v9, vcc_lo, 0, v10, vcc_lo
	v_add_co_u32 v4, vcc_lo, v4, v8
	v_add_co_ci_u32_e32 v11, vcc_lo, v7, v9, vcc_lo
	v_mul_hi_u32 v13, v5, v4
	v_mad_u64_u32 v[9:10], null, v6, v4, 0
	v_mad_u64_u32 v[7:8], null, v5, v11, 0
	;; [unrolled: 1-line block ×3, first 2 shown]
	v_add_co_u32 v4, vcc_lo, v13, v7
	v_add_co_ci_u32_e32 v7, vcc_lo, 0, v8, vcc_lo
	v_add_co_u32 v4, vcc_lo, v4, v9
	v_add_co_ci_u32_e32 v4, vcc_lo, v7, v10, vcc_lo
	v_add_co_ci_u32_e32 v7, vcc_lo, 0, v12, vcc_lo
	v_add_co_u32 v4, vcc_lo, v4, v11
	v_add_co_ci_u32_e32 v9, vcc_lo, 0, v7, vcc_lo
	v_mul_lo_u32 v10, s19, v4
	v_mad_u64_u32 v[7:8], null, s18, v4, 0
	v_mul_lo_u32 v11, s18, v9
	v_sub_co_u32 v7, vcc_lo, v5, v7
	v_add3_u32 v8, v8, v11, v10
	v_sub_nc_u32_e32 v10, v6, v8
	v_subrev_co_ci_u32_e64 v10, s0, s19, v10, vcc_lo
	v_add_co_u32 v11, s0, v4, 2
	v_add_co_ci_u32_e64 v12, s0, 0, v9, s0
	v_sub_co_u32 v13, s0, v7, s18
	v_sub_co_ci_u32_e32 v8, vcc_lo, v6, v8, vcc_lo
	v_subrev_co_ci_u32_e64 v10, s0, 0, v10, s0
	v_cmp_le_u32_e32 vcc_lo, s18, v13
	v_cmp_eq_u32_e64 s0, s19, v8
	v_cndmask_b32_e64 v13, 0, -1, vcc_lo
	v_cmp_le_u32_e32 vcc_lo, s19, v10
	v_cndmask_b32_e64 v14, 0, -1, vcc_lo
	v_cmp_le_u32_e32 vcc_lo, s18, v7
	;; [unrolled: 2-line block ×3, first 2 shown]
	v_cndmask_b32_e64 v15, 0, -1, vcc_lo
	v_cmp_eq_u32_e32 vcc_lo, s19, v10
	v_cndmask_b32_e64 v7, v15, v7, s0
	v_cndmask_b32_e32 v10, v14, v13, vcc_lo
	v_add_co_u32 v13, vcc_lo, v4, 1
	v_add_co_ci_u32_e32 v14, vcc_lo, 0, v9, vcc_lo
	v_cmp_ne_u32_e32 vcc_lo, 0, v10
	v_cndmask_b32_e32 v8, v14, v12, vcc_lo
	v_cndmask_b32_e32 v10, v13, v11, vcc_lo
	v_cmp_ne_u32_e32 vcc_lo, 0, v7
	v_cndmask_b32_e32 v8, v9, v8, vcc_lo
	v_cndmask_b32_e32 v7, v4, v10, vcc_lo
.LBB0_4:                                ;   in Loop: Header=BB0_2 Depth=1
	s_andn2_saveexec_b32 s0, s1
	s_cbranch_execz .LBB0_6
; %bb.5:                                ;   in Loop: Header=BB0_2 Depth=1
	v_cvt_f32_u32_e32 v4, s18
	s_sub_i32 s1, 0, s18
	v_rcp_iflag_f32_e32 v4, v4
	v_mul_f32_e32 v4, 0x4f7ffffe, v4
	v_cvt_u32_f32_e32 v4, v4
	v_mul_lo_u32 v7, s1, v4
	v_mul_hi_u32 v7, v4, v7
	v_add_nc_u32_e32 v4, v4, v7
	v_mul_hi_u32 v4, v5, v4
	v_mul_lo_u32 v7, v4, s18
	v_add_nc_u32_e32 v8, 1, v4
	v_sub_nc_u32_e32 v7, v5, v7
	v_subrev_nc_u32_e32 v9, s18, v7
	v_cmp_le_u32_e32 vcc_lo, s18, v7
	v_cndmask_b32_e32 v7, v7, v9, vcc_lo
	v_cndmask_b32_e32 v4, v4, v8, vcc_lo
	v_cmp_le_u32_e32 vcc_lo, s18, v7
	v_add_nc_u32_e32 v8, 1, v4
	v_cndmask_b32_e32 v7, v4, v8, vcc_lo
	v_mov_b32_e32 v8, v3
.LBB0_6:                                ;   in Loop: Header=BB0_2 Depth=1
	s_or_b32 exec_lo, exec_lo, s0
	s_load_dwordx2 s[0:1], s[6:7], 0x0
	v_mul_lo_u32 v4, v8, s18
	v_mul_lo_u32 v11, v7, s19
	v_mad_u64_u32 v[9:10], null, v7, s18, 0
	s_add_u32 s16, s16, 1
	s_addc_u32 s17, s17, 0
	s_add_u32 s6, s6, 8
	s_addc_u32 s7, s7, 0
	;; [unrolled: 2-line block ×3, first 2 shown]
	v_add3_u32 v4, v10, v11, v4
	v_sub_co_u32 v5, vcc_lo, v5, v9
	v_sub_co_ci_u32_e32 v4, vcc_lo, v6, v4, vcc_lo
	s_waitcnt lgkmcnt(0)
	v_mul_lo_u32 v6, s1, v5
	v_mul_lo_u32 v4, s0, v4
	v_mad_u64_u32 v[1:2], null, s0, v5, v[1:2]
	v_cmp_ge_u64_e64 s0, s[16:17], s[10:11]
	s_and_b32 vcc_lo, exec_lo, s0
	v_add3_u32 v2, v6, v2, v4
	s_cbranch_vccnz .LBB0_9
; %bb.7:                                ;   in Loop: Header=BB0_2 Depth=1
	v_mov_b32_e32 v5, v7
	v_mov_b32_e32 v6, v8
	s_branch .LBB0_2
.LBB0_8:
	v_mov_b32_e32 v8, v6
	v_mov_b32_e32 v7, v5
.LBB0_9:
	s_lshl_b64 s[0:1], s[10:11], 3
	v_mul_hi_u32 v3, 0x4ec4ec5, v0
	s_add_u32 s0, s12, s0
	s_addc_u32 s1, s13, s1
	s_load_dwordx2 s[4:5], s[4:5], 0x20
	s_load_dwordx2 s[0:1], s[0:1], 0x0
	v_mul_u32_u24_e32 v3, 52, v3
	v_sub_nc_u32_e32 v12, v0, v3
	v_add_nc_u32_e32 v16, 52, v12
	v_add_nc_u32_e32 v30, 0x68, v12
	;; [unrolled: 1-line block ×5, first 2 shown]
	s_waitcnt lgkmcnt(0)
	v_cmp_gt_u64_e32 vcc_lo, s[4:5], v[7:8]
	v_mul_lo_u32 v3, s0, v8
	v_mul_lo_u32 v4, s1, v7
	v_mad_u64_u32 v[0:1], null, s0, v7, v[1:2]
	v_cmp_le_u64_e64 s0, s[4:5], v[7:8]
	v_add_nc_u32_e32 v26, 0x138, v12
	v_add_nc_u32_e32 v23, 0x16c, v12
	;; [unrolled: 1-line block ×5, first 2 shown]
	v_add3_u32 v1, v4, v1, v3
	s_and_saveexec_b32 s1, s0
	s_xor_b32 s0, exec_lo, s1
; %bb.10:
	v_add_nc_u32_e32 v16, 52, v12
	v_add_nc_u32_e32 v30, 0x68, v12
	;; [unrolled: 1-line block ×10, first 2 shown]
; %bb.11:
	s_or_saveexec_b32 s1, s0
	v_lshlrev_b64 v[20:21], 2, v[0:1]
	v_or_b32_e32 v14, 0x340, v12
	s_xor_b32 exec_lo, exec_lo, s1
	s_cbranch_execz .LBB0_13
; %bb.12:
	v_mov_b32_e32 v13, 0
	v_add_co_u32 v6, s0, s2, v20
	v_add_co_ci_u32_e64 v7, s0, s3, v21, s0
	v_lshlrev_b64 v[0:1], 2, v[12:13]
	v_mov_b32_e32 v15, v13
	v_lshlrev_b64 v[2:3], 2, v[14:15]
	v_add_co_u32 v0, s0, v6, v0
	v_add_co_ci_u32_e64 v1, s0, v7, v1, s0
	s_clause 0x7
	global_load_dword v8, v[0:1], off
	global_load_dword v9, v[0:1], off offset:208
	global_load_dword v10, v[0:1], off offset:416
	;; [unrolled: 1-line block ×7, first 2 shown]
	v_add_co_u32 v4, s0, 0x800, v0
	v_add_co_ci_u32_e64 v5, s0, 0, v1, s0
	v_add_co_u32 v2, s0, v6, v2
	v_add_co_ci_u32_e64 v3, s0, v7, v3, s0
	;; [unrolled: 2-line block ×3, first 2 shown]
	s_clause 0xc
	global_load_dword v15, v[0:1], off offset:1664
	global_load_dword v0, v[0:1], off offset:1872
	;; [unrolled: 1-line block ×11, first 2 shown]
	global_load_dword v2, v[2:3], off
	global_load_dword v3, v[4:5], off offset:1904
	v_lshl_add_u32 v4, v12, 2, 0
	v_add_nc_u32_e32 v5, 0x200, v4
	v_add_nc_u32_e32 v7, 0x400, v4
	;; [unrolled: 1-line block ×5, first 2 shown]
	s_waitcnt vmcnt(19)
	ds_write2_b32 v4, v8, v9 offset1:52
	s_waitcnt vmcnt(17)
	ds_write2_b32 v4, v10, v11 offset0:104 offset1:156
	s_waitcnt vmcnt(15)
	ds_write2_b32 v5, v13, v17 offset0:80 offset1:132
	;; [unrolled: 2-line block ×9, first 2 shown]
	ds_write_b32 v4, v6 offset:4160
.LBB0_13:
	s_or_b32 exec_lo, exec_lo, s1
	v_lshlrev_b32_e32 v13, 2, v12
	s_waitcnt lgkmcnt(0)
	s_barrier
	buffer_gl0_inv
	v_lshl_add_u32 v10, v16, 3, 0
	v_add_nc_u32_e32 v65, 0, v13
	v_lshl_add_u32 v32, v30, 3, 0
	v_lshl_add_u32 v38, v29, 3, 0
	;; [unrolled: 1-line block ×4, first 2 shown]
	v_add_nc_u32_e32 v2, 0x800, v65
	v_add_nc_u32_e32 v3, 0xe00, v65
	;; [unrolled: 1-line block ×5, first 2 shown]
	ds_read2_b32 v[0:1], v2 offset0:8 offset1:34
	ds_read2_b32 v[3:4], v3 offset0:118 offset1:170
	ds_read2_b32 v[5:6], v7 offset0:160 offset1:212
	ds_read2_b32 v[35:36], v8 offset0:142 offset1:194
	ds_read2_b32 v[39:40], v7 offset0:56 offset1:108
	ds_read2_b32 v[41:42], v8 offset0:38 offset1:90
	ds_read2_b32 v[43:44], v9 offset0:80 offset1:132
	ds_read2_b32 v[45:46], v2 offset0:190 offset1:242
	ds_read2_b32 v[47:48], v65 offset0:104 offset1:156
	ds_read2_b32 v[49:50], v2 offset0:86 offset1:138
	ds_read2_b32 v[51:52], v65 offset1:52
	v_lshl_add_u32 v34, v26, 3, 0
	v_lshl_add_u32 v68, v23, 3, 0
	;; [unrolled: 1-line block ×4, first 2 shown]
	v_add_nc_u32_e32 v7, v65, v13
	v_cmp_gt_u32_e64 s0, 26, v12
	s_waitcnt lgkmcnt(0)
	s_barrier
	buffer_gl0_inv
	v_pk_add_f16 v19, v0, v4 neg_lo:[0,1] neg_hi:[0,1]
	v_pk_add_f16 v3, v6, v3 neg_lo:[0,1] neg_hi:[0,1]
	;; [unrolled: 1-line block ×7, first 2 shown]
	v_pk_fma_f16 v11, v0, 2.0, v19 op_sel_hi:[1,0,1] neg_lo:[0,0,1] neg_hi:[0,0,1]
	v_pk_fma_f16 v0, v6, 2.0, v3 op_sel_hi:[1,0,1] neg_lo:[0,0,1] neg_hi:[0,0,1]
	;; [unrolled: 1-line block ×3, first 2 shown]
	v_pk_add_f16 v40, v52, v49 neg_lo:[0,1] neg_hi:[0,1]
	v_pk_fma_f16 v33, v39, 2.0, v17 op_sel_hi:[1,0,1] neg_lo:[0,0,1] neg_hi:[0,0,1]
	v_pk_add_f16 v36, v43, v46 neg_lo:[0,1] neg_hi:[0,1]
	v_pk_add_f16 v39, v47, v50 neg_lo:[0,1] neg_hi:[0,1]
	;; [unrolled: 1-line block ×3, first 2 shown]
	v_pk_fma_f16 v35, v44, 2.0, v31 op_sel_hi:[1,0,1] neg_lo:[0,0,1] neg_hi:[0,0,1]
	v_pk_fma_f16 v44, v51, 2.0, v1 op_sel_hi:[1,0,1] neg_lo:[0,0,1] neg_hi:[0,0,1]
	;; [unrolled: 1-line block ×7, first 2 shown]
	ds_write2_b32 v7, v44, v1 offset1:1
	ds_write2_b32 v10, v45, v40 offset1:1
	;; [unrolled: 1-line block ×10, first 2 shown]
	s_and_saveexec_b32 s1, s0
	s_cbranch_execz .LBB0_15
; %bb.14:
	v_lshl_add_u32 v0, v18, 3, 0
	ds_write2_b32 v0, v11, v19 offset1:1
.LBB0_15:
	s_or_b32 exec_lo, exec_lo, s1
	v_lshlrev_b32_e32 v43, 2, v16
	v_lshlrev_b32_e32 v70, 2, v30
	;; [unrolled: 1-line block ×5, first 2 shown]
	v_add_nc_u32_e32 v4, 0xa00, v65
	v_lshlrev_b32_e32 v77, 2, v27
	v_lshlrev_b32_e32 v78, 2, v26
	;; [unrolled: 1-line block ×4, first 2 shown]
	v_sub_nc_u32_e32 v9, v10, v43
	v_sub_nc_u32_e32 v31, v32, v70
	;; [unrolled: 1-line block ×5, first 2 shown]
	s_waitcnt lgkmcnt(0)
	s_barrier
	buffer_gl0_inv
	ds_read2_b32 v[0:1], v2 offset0:34 offset1:86
	ds_read2_b32 v[2:3], v2 offset0:138 offset1:190
	;; [unrolled: 1-line block ×3, first 2 shown]
	v_sub_nc_u32_e32 v36, v67, v77
	v_sub_nc_u32_e32 v37, v34, v78
	ds_read2_b32 v[6:7], v8 offset0:90 offset1:142
	v_sub_nc_u32_e32 v39, v68, v92
	v_sub_nc_u32_e32 v40, v15, v17
	ds_read_b32 v45, v65
	ds_read_b32 v47, v9
	;; [unrolled: 1-line block ×8, first 2 shown]
	ds_read2_b32 v[8:9], v8 offset0:194 offset1:246
	ds_read_b32 v56, v40
	ds_read_b32 v41, v41
	v_lshlrev_b32_e32 v44, 1, v23
	v_lshlrev_b32_e32 v46, 1, v25
	;; [unrolled: 1-line block ×3, first 2 shown]
	v_lshrrev_b32_e32 v42, 16, v19
	v_lshl_add_u32 v66, v18, 2, 0
	v_lshlrev_b32_e32 v40, 1, v16
	v_lshlrev_b32_e32 v39, 1, v30
	;; [unrolled: 1-line block ×6, first 2 shown]
	s_and_saveexec_b32 s1, s0
	s_cbranch_execz .LBB0_17
; %bb.16:
	ds_read_b32 v19, v65 offset:4264
	ds_read_b32 v11, v66
	s_waitcnt lgkmcnt(1)
	v_lshrrev_b32_e32 v42, 16, v19
.LBB0_17:
	s_or_b32 exec_lo, exec_lo, s1
	v_and_b32_e32 v57, 1, v12
	v_sub_nc_u32_e32 v49, 0, v43
	s_waitcnt lgkmcnt(0)
	v_lshrrev_b32_e32 v59, 16, v11
	v_lshlrev_b32_e32 v31, 2, v57
	v_and_or_b32 v73, 0x2fc, v33, v57
	v_and_or_b32 v46, 0x3fc, v46, v57
	;; [unrolled: 1-line block ×4, first 2 shown]
	global_load_dword v58, v31, s[8:9]
	v_lshlrev_b32_e32 v31, 1, v12
	v_lshl_add_u32 v75, v73, 2, 0
	v_lshl_add_u32 v79, v46, 2, 0
	;; [unrolled: 1-line block ×4, first 2 shown]
	v_and_or_b32 v43, 0x7c, v31, v57
	v_and_or_b32 v60, 0xfc, v40, v57
	;; [unrolled: 1-line block ×5, first 2 shown]
	v_lshl_add_u32 v74, v43, 2, 0
	v_and_or_b32 v64, 0x2fc, v35, v57
	v_lshl_add_u32 v60, v60, 2, 0
	v_lshl_add_u32 v61, v61, 2, 0
	;; [unrolled: 1-line block ×5, first 2 shown]
	s_waitcnt vmcnt(0)
	s_barrier
	buffer_gl0_inv
	v_pk_mul_f16 v43, v58, v9 op_sel:[0,1]
	v_mul_f16_sdwa v46, v19, v58 dst_sel:DWORD dst_unused:UNUSED_PAD src0_sel:DWORD src1_sel:WORD_1
	v_pk_mul_f16 v48, v58, v0 op_sel:[0,1]
	v_pk_mul_f16 v73, v58, v1 op_sel:[0,1]
	;; [unrolled: 1-line block ×9, first 2 shown]
	v_mul_f16_sdwa v44, v42, v58 dst_sel:DWORD dst_unused:UNUSED_PAD src0_sel:DWORD src1_sel:WORD_1
	v_pk_fma_f16 v88, v58, v9, v43 op_sel:[0,0,1] op_sel_hi:[1,1,0] neg_lo:[0,0,1] neg_hi:[0,0,1]
	v_pk_fma_f16 v9, v58, v9, v43 op_sel:[0,0,1] op_sel_hi:[1,0,0]
	v_fmac_f16_e32 v46, v42, v58
	v_pk_fma_f16 v42, v58, v0, v48 op_sel:[0,0,1] op_sel_hi:[1,1,0] neg_lo:[0,0,1] neg_hi:[0,0,1]
	v_pk_fma_f16 v0, v58, v0, v48 op_sel:[0,0,1] op_sel_hi:[1,0,0]
	v_pk_fma_f16 v43, v58, v1, v73 op_sel:[0,0,1] op_sel_hi:[1,1,0] neg_lo:[0,0,1] neg_hi:[0,0,1]
	v_pk_fma_f16 v1, v58, v1, v73 op_sel:[0,0,1] op_sel_hi:[1,0,0]
	;; [unrolled: 2-line block ×9, first 2 shown]
	v_fma_f16 v19, v19, v58, -v44
	v_bfi_b32 v9, 0xffff, v88, v9
	v_bfi_b32 v0, 0xffff, v42, v0
	;; [unrolled: 1-line block ×8, first 2 shown]
	v_sub_f16_e32 v44, v11, v19
	v_sub_f16_e32 v81, v59, v46
	v_bfi_b32 v5, 0xffff, v83, v5
	v_bfi_b32 v6, 0xffff, v84, v6
	v_pk_add_f16 v42, v41, v9 neg_lo:[0,1] neg_hi:[0,1]
	v_pk_add_f16 v0, v45, v0 neg_lo:[0,1] neg_hi:[0,1]
	;; [unrolled: 1-line block ×8, first 2 shown]
	v_fma_f16 v43, v11, 2.0, -v44
	v_fma_f16 v80, v59, 2.0, -v81
	v_pk_add_f16 v5, v53, v5 neg_lo:[0,1] neg_hi:[0,1]
	v_pk_add_f16 v73, v54, v6 neg_lo:[0,1] neg_hi:[0,1]
	v_pk_fma_f16 v41, v41, 2.0, v42 op_sel_hi:[1,0,1] neg_lo:[0,0,1] neg_hi:[0,0,1]
	v_pk_fma_f16 v6, v45, 2.0, v0 op_sel_hi:[1,0,1] neg_lo:[0,0,1] neg_hi:[0,0,1]
	;; [unrolled: 1-line block ×10, first 2 shown]
	ds_write2_b32 v74, v6, v0 offset1:2
	ds_write2_b32 v60, v7, v1 offset1:2
	;; [unrolled: 1-line block ×10, first 2 shown]
	s_and_saveexec_b32 s1, s0
	s_cbranch_execz .LBB0_19
; %bb.18:
	v_lshlrev_b32_e32 v0, 1, v18
	v_perm_b32 v1, v80, v43, 0x5040100
	v_perm_b32 v2, v81, v44, 0x5040100
	v_and_or_b32 v0, 0x47c, v0, v57
	v_lshl_add_u32 v0, v0, 2, 0
	ds_write2_b32 v0, v1, v2 offset1:2
.LBB0_19:
	s_or_b32 exec_lo, exec_lo, s1
	v_add_nc_u32_e32 v3, 0x400, v65
	v_add_nc_u32_e32 v2, 0x600, v65
	;; [unrolled: 1-line block ×4, first 2 shown]
	s_waitcnt lgkmcnt(0)
	s_barrier
	buffer_gl0_inv
	ds_read2_b32 v[53:54], v65 offset1:84
	ds_read2_b32 v[63:64], v65 offset0:168 offset1:252
	ds_read2_b32 v[61:62], v3 offset0:80 offset1:164
	;; [unrolled: 1-line block ×5, first 2 shown]
	ds_read_b32 v94, v65 offset:4032
	v_cmp_gt_u32_e64 s1, 32, v12
	v_lshrrev_b32_e32 v83, 16, v41
	v_lshrrev_b32_e32 v82, 16, v42
	;; [unrolled: 1-line block ×7, first 2 shown]
	v_add_nc_u32_e32 v19, v10, v49
                                        ; implicit-def: $vgpr91
                                        ; implicit-def: $vgpr52
                                        ; implicit-def: $vgpr90
                                        ; implicit-def: $vgpr88
                                        ; implicit-def: $vgpr50
                                        ; implicit-def: $vgpr86
	s_and_saveexec_b32 s4, s1
	s_cbranch_execz .LBB0_21
; %bb.20:
	ds_read_b32 v73, v19
	ds_read2_b32 v[47:48], v65 offset0:136 offset1:220
	ds_read2_b32 v[45:46], v3 offset0:48 offset1:132
	;; [unrolled: 1-line block ×3, first 2 shown]
	v_add_nc_u32_e32 v2, 0xe00, v65
	ds_read2_b32 v[43:44], v0 offset0:128 offset1:212
	ds_read2_b32 v[49:50], v1 offset0:40 offset1:124
	;; [unrolled: 1-line block ×3, first 2 shown]
	s_waitcnt lgkmcnt(6)
	v_lshrrev_b32_e32 v74, 16, v73
	s_waitcnt lgkmcnt(5)
	v_lshrrev_b32_e32 v89, 16, v47
	v_lshrrev_b32_e32 v87, 16, v48
	s_waitcnt lgkmcnt(4)
	v_lshrrev_b32_e32 v85, 16, v45
	;; [unrolled: 3-line block ×6, first 2 shown]
	v_lshrrev_b32_e32 v91, 16, v52
.LBB0_21:
	s_or_b32 exec_lo, exec_lo, s4
	v_and_b32_e32 v75, 3, v12
	s_waitcnt lgkmcnt(0)
	v_lshrrev_b32_e32 v96, 16, v94
	v_lshrrev_b32_e32 v106, 16, v54
	;; [unrolled: 1-line block ×4, first 2 shown]
	v_mul_u32_u24_e32 v0, 12, v75
	v_sub_nc_u32_e32 v76, 0, v70
	v_sub_nc_u32_e32 v79, 0, v71
	;; [unrolled: 1-line block ×4, first 2 shown]
	v_lshlrev_b32_e32 v8, 2, v0
	v_sub_nc_u32_e32 v77, 0, v78
	v_sub_nc_u32_e32 v70, 0, v92
	;; [unrolled: 1-line block ×3, first 2 shown]
	v_lshrrev_b32_e32 v98, 16, v58
	s_clause 0x2
	global_load_dwordx4 v[4:7], v8, s[8:9] offset:8
	global_load_dwordx4 v[0:3], v8, s[8:9] offset:24
	;; [unrolled: 1-line block ×3, first 2 shown]
	v_lshrrev_b32_e32 v97, 16, v55
	v_lshrrev_b32_e32 v104, 16, v64
	;; [unrolled: 1-line block ×7, first 2 shown]
	s_waitcnt vmcnt(0)
	s_barrier
	buffer_gl0_inv
	v_mul_f16_sdwa v92, v4, v106 dst_sel:DWORD dst_unused:UNUSED_PAD src0_sel:WORD_1 src1_sel:DWORD
	v_mul_f16_sdwa v93, v4, v54 dst_sel:DWORD dst_unused:UNUSED_PAD src0_sel:WORD_1 src1_sel:DWORD
	v_mul_f16_sdwa v127, v96, v11 dst_sel:DWORD dst_unused:UNUSED_PAD src0_sel:DWORD src1_sel:WORD_1
	v_mul_f16_sdwa v128, v94, v11 dst_sel:DWORD dst_unused:UNUSED_PAD src0_sel:DWORD src1_sel:WORD_1
	v_mul_f16_sdwa v107, v5, v105 dst_sel:DWORD dst_unused:UNUSED_PAD src0_sel:WORD_1 src1_sel:DWORD
	v_mul_f16_sdwa v108, v5, v63 dst_sel:DWORD dst_unused:UNUSED_PAD src0_sel:WORD_1 src1_sel:DWORD
	v_mul_f16_sdwa v124, v55, v9 dst_sel:DWORD dst_unused:UNUSED_PAD src0_sel:DWORD src1_sel:WORD_1
	v_mul_f16_sdwa v125, v95, v10 dst_sel:DWORD dst_unused:UNUSED_PAD src0_sel:DWORD src1_sel:WORD_1
	;; [unrolled: 1-line block ×3, first 2 shown]
	v_fma_f16 v54, v4, v54, -v92
	v_fmac_f16_e32 v93, v4, v106
	v_fma_f16 v92, v94, v11, -v127
	v_fmac_f16_e32 v128, v96, v11
	v_mul_f16_sdwa v109, v6, v104 dst_sel:DWORD dst_unused:UNUSED_PAD src0_sel:WORD_1 src1_sel:DWORD
	v_mul_f16_sdwa v116, v1, v59 dst_sel:DWORD dst_unused:UNUSED_PAD src0_sel:WORD_1 src1_sel:DWORD
	;; [unrolled: 1-line block ×4, first 2 shown]
	v_mul_f16_sdwa v121, v98, v8 dst_sel:DWORD dst_unused:UNUSED_PAD src0_sel:DWORD src1_sel:WORD_1
	v_mul_f16_sdwa v122, v58, v8 dst_sel:DWORD dst_unused:UNUSED_PAD src0_sel:DWORD src1_sel:WORD_1
	;; [unrolled: 1-line block ×3, first 2 shown]
	v_fma_f16 v63, v5, v63, -v107
	v_fmac_f16_e32 v108, v5, v105
	v_fmac_f16_e32 v124, v97, v9
	v_fma_f16 v56, v56, v10, -v125
	v_fmac_f16_e32 v126, v95, v10
	v_add_f16_e32 v94, v54, v53
	v_add_f16_sdwa v95, v93, v53 dst_sel:DWORD dst_unused:UNUSED_PAD src0_sel:DWORD src1_sel:WORD_1
	v_add_f16_e32 v96, v54, v92
	v_add_f16_e32 v97, v93, v128
	v_sub_f16_e32 v54, v54, v92
	v_sub_f16_e32 v93, v93, v128
	v_mul_f16_sdwa v110, v6, v64 dst_sel:DWORD dst_unused:UNUSED_PAD src0_sel:WORD_1 src1_sel:DWORD
	v_mul_f16_sdwa v111, v7, v103 dst_sel:DWORD dst_unused:UNUSED_PAD src0_sel:WORD_1 src1_sel:DWORD
	;; [unrolled: 1-line block ×5, first 2 shown]
	v_fma_f16 v64, v6, v64, -v109
	v_fmac_f16_e32 v116, v1, v101
	v_fmac_f16_e32 v118, v2, v100
	;; [unrolled: 1-line block ×3, first 2 shown]
	v_fma_f16 v58, v58, v8, -v121
	v_fmac_f16_e32 v122, v98, v8
	v_fma_f16 v55, v55, v9, -v123
	v_add_f16_e32 v98, v63, v56
	v_add_f16_e32 v99, v108, v126
	v_sub_f16_e32 v100, v63, v56
	v_sub_f16_e32 v101, v108, v126
	v_add_f16_e32 v63, v94, v63
	v_add_f16_e32 v94, v95, v108
	v_mul_f16_e32 v95, 0xb770, v93
	v_mul_f16_e32 v108, 0xb770, v54
	;; [unrolled: 1-line block ×12, first 2 shown]
	v_mul_f16_sdwa v112, v7, v61 dst_sel:DWORD dst_unused:UNUSED_PAD src0_sel:WORD_1 src1_sel:DWORD
	v_mul_f16_sdwa v113, v0, v102 dst_sel:DWORD dst_unused:UNUSED_PAD src0_sel:WORD_1 src1_sel:DWORD
	v_fma_f16 v61, v7, v61, -v111
	v_fma_f16 v173, v96, 0x3b15, -v95
	v_fmamk_f16 v174, v97, 0x3b15, v108
	v_fmac_f16_e32 v95, 0x3b15, v96
	v_fma_f16 v108, v97, 0x3b15, -v108
	v_fma_f16 v175, v96, 0x388b, -v121
	v_fmamk_f16 v176, v97, 0x388b, v123
	v_fmac_f16_e32 v121, 0x388b, v96
	;; [unrolled: 4-line block ×6, first 2 shown]
	v_fma_f16 v54, v97, 0xbbc4, -v54
	v_add_f16_e32 v63, v63, v64
	v_mul_f16_sdwa v114, v0, v62 dst_sel:DWORD dst_unused:UNUSED_PAD src0_sel:WORD_1 src1_sel:DWORD
	v_fmac_f16_e32 v110, v6, v104
	v_fma_f16 v62, v0, v62, -v113
	v_add_f16_e32 v173, v173, v53
	v_add_f16_sdwa v174, v174, v53 dst_sel:DWORD dst_unused:UNUSED_PAD src0_sel:DWORD src1_sel:WORD_1
	v_add_f16_e32 v95, v95, v53
	v_add_f16_sdwa v108, v108, v53 dst_sel:DWORD dst_unused:UNUSED_PAD src0_sel:DWORD src1_sel:WORD_1
	;; [unrolled: 2-line block ×12, first 2 shown]
	v_add_f16_e32 v54, v63, v61
	v_fmac_f16_e32 v112, v7, v103
	v_fma_f16 v59, v1, v59, -v115
	v_add_f16_e32 v103, v64, v55
	v_sub_f16_e32 v104, v64, v55
	v_add_f16_e32 v64, v94, v110
	v_add_f16_e32 v54, v54, v62
	v_fmac_f16_e32 v114, v0, v102
	v_fma_f16 v60, v2, v60, -v117
	v_sub_f16_e32 v102, v110, v124
	v_add_f16_e32 v107, v61, v58
	v_sub_f16_e32 v109, v61, v58
	v_mul_f16_e32 v133, 0xba95, v101
	v_mul_f16_e32 v134, 0xba95, v100
	;; [unrolled: 1-line block ×12, first 2 shown]
	v_add_f16_e32 v61, v64, v112
	v_add_f16_e32 v54, v54, v59
	v_fma_f16 v57, v3, v57, -v119
	v_add_f16_e32 v105, v110, v124
	v_sub_f16_e32 v106, v112, v122
	v_mul_f16_e32 v143, 0xbbf1, v102
	v_mul_f16_e32 v144, 0xb3a8, v102
	;; [unrolled: 1-line block ×12, first 2 shown]
	v_fma_f16 v96, v98, 0x388b, -v133
	v_fmamk_f16 v97, v99, 0x388b, v134
	v_fmac_f16_e32 v133, 0x388b, v98
	v_fma_f16 v134, v99, 0x388b, -v134
	v_fma_f16 v185, v98, 0xb5ac, -v135
	v_fmamk_f16 v186, v99, 0xb5ac, v136
	v_fmac_f16_e32 v135, 0xb5ac, v98
	v_fma_f16 v136, v99, 0xb5ac, -v136
	;; [unrolled: 4-line block ×4, first 2 shown]
	v_fma_f16 v191, v98, 0x2fb7, -v141
	v_fmac_f16_e32 v141, 0x2fb7, v98
	v_fma_f16 v192, v98, 0x3b15, -v101
	v_fmac_f16_e32 v101, 0x3b15, v98
	v_fmamk_f16 v98, v99, 0x2fb7, v142
	v_fma_f16 v142, v99, 0x2fb7, -v142
	v_fmamk_f16 v193, v99, 0x3b15, v100
	v_fma_f16 v99, v99, 0x3b15, -v100
	v_add_f16_e32 v61, v61, v114
	v_add_f16_e32 v54, v54, v60
	;; [unrolled: 1-line block ×3, first 2 shown]
	v_sub_f16_e32 v115, v114, v120
	v_sub_f16_e32 v117, v62, v57
	v_mul_f16_e32 v153, 0xbb7b, v106
	v_mul_f16_e32 v154, 0x394e, v106
	;; [unrolled: 1-line block ×12, first 2 shown]
	v_fma_f16 v100, v103, 0x2fb7, -v143
	v_fmac_f16_e32 v143, 0x2fb7, v103
	v_fma_f16 v194, v103, 0xbbc4, -v144
	v_fmac_f16_e32 v144, 0xbbc4, v103
	;; [unrolled: 2-line block ×6, first 2 shown]
	v_fmamk_f16 v94, v105, 0x2fb7, v148
	v_fma_f16 v103, v105, 0x2fb7, -v148
	v_fmamk_f16 v110, v105, 0xbbc4, v149
	v_fma_f16 v148, v105, 0xbbc4, -v149
	;; [unrolled: 2-line block ×5, first 2 shown]
	v_add_f16_e32 v63, v96, v173
	v_add_f16_e32 v64, v97, v174
	v_add_f16_e32 v95, v133, v95
	v_add_f16_e32 v96, v134, v108
	v_add_f16_e32 v97, v185, v175
	v_add_f16_e32 v108, v186, v176
	v_add_f16_e32 v112, v135, v121
	v_add_f16_e32 v121, v136, v123
	v_add_f16_e32 v123, v187, v177
	v_add_f16_e32 v133, v188, v178
	v_add_f16_e32 v125, v137, v125
	v_add_f16_e32 v127, v138, v127
	v_add_f16_e32 v134, v189, v179
	v_add_f16_e32 v135, v190, v180
	v_add_f16_e32 v130, v140, v130
	v_add_f16_e32 v131, v141, v131
	v_add_f16_e32 v53, v99, v53
	v_add_f16_e32 v61, v61, v116
	v_add_f16_e32 v54, v54, v57
	v_add_f16_e32 v113, v62, v57
	v_add_f16_e32 v119, v114, v120
	v_mul_f16_e32 v163, 0xb94e, v115
	v_mul_f16_e32 v164, 0xb94e, v117
	v_mul_f16_e32 v165, 0x3bf1, v115
	v_mul_f16_e32 v166, 0x3bf1, v117
	v_mul_f16_e32 v167, 0xba95, v115
	v_mul_f16_e32 v168, 0xba95, v117
	v_mul_f16_e32 v169, 0x33a8, v115
	v_mul_f16_e32 v170, 0x33a8, v117
	v_mul_f16_e32 v171, 0x3770, v115
	v_fmamk_f16 v200, v105, 0x388b, v152
	v_fma_f16 v152, v105, 0x388b, -v152
	v_fma_f16 v105, v107, 0xb5ac, -v153
	v_fmac_f16_e32 v153, 0xb5ac, v107
	v_fma_f16 v202, v107, 0xb9fd, -v154
	v_fmac_f16_e32 v154, 0xb9fd, v107
	;; [unrolled: 2-line block ×6, first 2 shown]
	v_fmamk_f16 v107, v111, 0xb5ac, v158
	v_fma_f16 v158, v111, 0xb5ac, -v158
	v_fmamk_f16 v207, v111, 0xb9fd, v159
	v_fma_f16 v159, v111, 0xb9fd, -v159
	;; [unrolled: 2-line block ×5, first 2 shown]
	v_add_f16_e32 v129, v139, v129
	v_add_f16_e32 v136, v191, v181
	;; [unrolled: 1-line block ×23, first 2 shown]
	v_mul_f16_e32 v172, 0x3770, v117
	v_fmamk_f16 v210, v111, 0xbbc4, v162
	v_fma_f16 v162, v111, 0xbbc4, -v162
	v_fma_f16 v111, v113, 0xb9fd, -v163
	v_fmamk_f16 v212, v119, 0xb9fd, v164
	v_fmac_f16_e32 v163, 0xb9fd, v113
	v_fma_f16 v164, v119, 0xb9fd, -v164
	v_fma_f16 v213, v113, 0x2fb7, -v165
	v_fmamk_f16 v214, v119, 0x2fb7, v166
	v_fmac_f16_e32 v165, 0x2fb7, v113
	v_fma_f16 v166, v119, 0x2fb7, -v166
	v_fma_f16 v215, v113, 0x388b, -v167
	v_fmamk_f16 v216, v119, 0x388b, v168
	v_fma_f16 v168, v119, 0x388b, -v168
	v_fma_f16 v217, v113, 0xbbc4, -v169
	v_fmamk_f16 v218, v119, 0xbbc4, v170
	v_fma_f16 v170, v119, 0xbbc4, -v170
	v_fma_f16 v219, v113, 0x3b15, -v171
	v_add_f16_e32 v114, v146, v129
	v_add_f16_e32 v123, v197, v136
	;; [unrolled: 1-line block ×23, first 2 shown]
	v_fmac_f16_e32 v171, 0x3b15, v113
	v_sub_f16_e32 v109, v116, v118
	v_fmac_f16_e32 v167, 0x388b, v113
	v_fmac_f16_e32 v169, 0xbbc4, v113
	v_add_f16_e32 v107, v156, v114
	v_add_f16_e32 v110, v205, v123
	;; [unrolled: 1-line block ×20, first 2 shown]
	v_mul_f16_e32 v104, 0xbb7b, v115
	v_mul_f16_e32 v105, 0xbb7b, v117
	v_fma_f16 v106, v119, 0x3b15, -v172
	v_add_f16_e32 v108, v171, v112
	v_add_f16_e32 v111, v59, v60
	v_mul_f16_e32 v112, 0xb3a8, v109
	v_sub_f16_e32 v59, v59, v60
	v_add_f16_e32 v55, v57, v124
	v_add_f16_e32 v57, v167, v102
	;; [unrolled: 1-line block ×5, first 2 shown]
	v_fma_f16 v107, v113, 0xb5ac, -v104
	v_fmamk_f16 v110, v119, 0xb5ac, v105
	v_add_f16_e32 v106, v106, v114
	v_fmac_f16_e32 v104, 0xb5ac, v113
	v_fma_f16 v60, v119, 0xb5ac, -v105
	v_fma_f16 v105, v111, 0xbbc4, -v112
	v_add_f16_e32 v113, v116, v118
	v_mul_f16_e32 v114, 0xb3a8, v59
	v_add_f16_e32 v93, v104, v93
	v_add_f16_e32 v53, v60, v53
	;; [unrolled: 1-line block ×3, first 2 shown]
	v_mul_f16_e32 v61, 0x3770, v109
	v_fmamk_f16 v104, v113, 0xbbc4, v114
	v_fma_f16 v105, v113, 0xbbc4, -v114
	v_mul_f16_e32 v114, 0x3770, v59
	v_fmac_f16_e32 v112, 0xbbc4, v111
	v_fma_f16 v115, v111, 0x3b15, -v61
	v_add_f16_e32 v62, v104, v62
	v_add_f16_e32 v64, v105, v64
	v_fmamk_f16 v104, v113, 0x3b15, v114
	v_fmac_f16_e32 v61, 0x3b15, v111
	v_mul_f16_e32 v105, 0xb94e, v109
	v_add_f16_e32 v63, v112, v63
	v_fma_f16 v112, v113, 0x3b15, -v114
	v_add_f16_e32 v95, v104, v95
	v_mul_f16_e32 v104, 0xb94e, v59
	v_add_f16_e32 v61, v61, v96
	v_fma_f16 v96, v111, 0xb9fd, -v105
	v_fmac_f16_e32 v105, 0xb9fd, v111
	v_add_f16_e32 v58, v112, v58
	v_mul_f16_e32 v112, 0x3a95, v109
	v_fmamk_f16 v114, v113, 0xb9fd, v104
	v_add_f16_e32 v98, v98, v182
	v_add_f16_e32 v57, v105, v57
	v_mul_f16_e32 v105, 0x3a95, v59
	v_add_f16_e32 v96, v96, v97
	v_fma_f16 v97, v113, 0xb9fd, -v104
	v_fma_f16 v104, v111, 0x388b, -v112
	v_add_f16_e32 v99, v114, v99
	v_fmamk_f16 v114, v113, 0x388b, v105
	v_fma_f16 v105, v113, 0x388b, -v105
	v_add_f16_e32 v137, v192, v183
	v_add_f16_e32 v138, v193, v184
	;; [unrolled: 1-line block ×5, first 2 shown]
	v_mul_f16_e32 v101, 0xbb7b, v109
	v_add_f16_e32 v103, v105, v103
	v_lshrrev_b32_e32 v105, 2, v12
	v_add_f16_e32 v129, v198, v137
	v_add_f16_e32 v130, v201, v138
	v_mul_f16_e32 v104, 0xbb7b, v59
	v_fmamk_f16 v220, v119, 0x3b15, v172
	v_add_f16_e32 v98, v210, v98
	v_add_f16_e32 v55, v55, v126
	;; [unrolled: 1-line block ×3, first 2 shown]
	v_fma_f16 v115, v111, 0xb5ac, -v101
	v_fmac_f16_e32 v101, 0xb5ac, v111
	v_mul_f16_e32 v59, 0x3bf1, v59
	v_mul_u32_u24_e32 v105, 52, v105
	v_add_f16_e32 v121, v206, v129
	v_add_f16_e32 v123, v211, v130
	v_fmamk_f16 v116, v113, 0xb5ac, v104
	v_fma_f16 v104, v113, 0xb5ac, -v104
	v_mul_f16_e32 v109, 0x3bf1, v109
	v_add_f16_e32 v55, v55, v128
	v_add_f16_e32 v98, v220, v98
	;; [unrolled: 1-line block ×3, first 2 shown]
	v_fmamk_f16 v108, v113, 0x2fb7, v59
	v_fma_f16 v59, v113, 0x2fb7, -v59
	v_or_b32_e32 v105, v105, v75
	v_add_f16_e32 v107, v107, v121
	v_add_f16_e32 v110, v110, v123
	;; [unrolled: 1-line block ×3, first 2 shown]
	v_fma_f16 v106, v111, 0x2fb7, -v109
	v_fmac_f16_e32 v109, 0x2fb7, v111
	v_fmac_f16_e32 v112, 0x388b, v111
	v_add_f16_e32 v56, v114, v56
	v_add_f16_e32 v92, v115, v92
	;; [unrolled: 1-line block ×4, first 2 shown]
	v_lshl_add_u32 v59, v105, 2, 0
	v_pack_b32_f16 v54, v54, v55
	v_pack_b32_f16 v55, v60, v62
	v_add_f16_e32 v106, v106, v107
	v_add_f16_e32 v107, v108, v110
	;; [unrolled: 1-line block ×3, first 2 shown]
	v_pack_b32_f16 v60, v94, v95
	v_pack_b32_f16 v62, v96, v99
	v_add_f16_e32 v102, v112, v102
	ds_write2_b32 v59, v54, v55 offset1:4
	ds_write2_b32 v59, v60, v62 offset0:8 offset1:12
	v_pack_b32_f16 v54, v100, v56
	v_pack_b32_f16 v55, v92, v98
	;; [unrolled: 1-line block ×9, first 2 shown]
	ds_write2_b32 v59, v54, v55 offset0:16 offset1:20
	ds_write2_b32 v59, v56, v53 offset0:24 offset1:28
	;; [unrolled: 1-line block ×4, first 2 shown]
	ds_write_b32 v59, v61 offset:192
	s_and_saveexec_b32 s4, s1
	s_cbranch_execz .LBB0_23
; %bb.22:
	v_mul_f16_sdwa v53, v52, v11 dst_sel:DWORD dst_unused:UNUSED_PAD src0_sel:DWORD src1_sel:WORD_1
	v_mul_f16_sdwa v55, v47, v4 dst_sel:DWORD dst_unused:UNUSED_PAD src0_sel:DWORD src1_sel:WORD_1
	;; [unrolled: 1-line block ×5, first 2 shown]
	v_fmac_f16_e32 v53, v91, v11
	v_fmac_f16_e32 v55, v89, v4
	v_mul_f16_sdwa v56, v48, v5 dst_sel:DWORD dst_unused:UNUSED_PAD src0_sel:DWORD src1_sel:WORD_1
	v_fma_f16 v58, v47, v4, -v57
	v_fma_f16 v47, v52, v11, -v59
	v_mul_f16_sdwa v59, v87, v5 dst_sel:DWORD dst_unused:UNUSED_PAD src0_sel:DWORD src1_sel:WORD_1
	v_add_f16_e32 v4, v55, v53
	v_fmac_f16_e32 v54, v90, v10
	v_fmac_f16_e32 v56, v87, v5
	v_mul_f16_sdwa v60, v90, v10 dst_sel:DWORD dst_unused:UNUSED_PAD src0_sel:DWORD src1_sel:WORD_1
	v_mul_f16_sdwa v52, v50, v9 dst_sel:DWORD dst_unused:UNUSED_PAD src0_sel:DWORD src1_sel:WORD_1
	;; [unrolled: 1-line block ×3, first 2 shown]
	v_sub_f16_e32 v62, v58, v47
	v_mul_f16_e32 v63, 0xb9fd, v4
	v_add_f16_e32 v11, v56, v54
	v_fma_f16 v61, v48, v5, -v59
	v_fma_f16 v48, v51, v10, -v60
	v_fmac_f16_e32 v52, v88, v9
	v_fmac_f16_e32 v57, v85, v6
	v_mul_f16_sdwa v10, v85, v6 dst_sel:DWORD dst_unused:UNUSED_PAD src0_sel:DWORD src1_sel:WORD_1
	v_mul_f16_sdwa v51, v88, v9 dst_sel:DWORD dst_unused:UNUSED_PAD src0_sel:DWORD src1_sel:WORD_1
	v_fmamk_f16 v64, v62, 0x394e, v63
	v_mul_f16_e32 v85, 0x2fb7, v11
	v_sub_f16_e32 v87, v61, v48
	v_add_f16_e32 v5, v57, v52
	v_fma_f16 v59, v45, v6, -v10
	v_fma_f16 v45, v50, v9, -v51
	v_add_f16_e32 v6, v74, v64
	v_fmamk_f16 v9, v87, 0xbbf1, v85
	v_mul_f16_e32 v64, 0x388b, v5
	v_mul_f16_sdwa v50, v49, v8 dst_sel:DWORD dst_unused:UNUSED_PAD src0_sel:DWORD src1_sel:WORD_1
	v_sub_f16_e32 v88, v59, v45
	v_mul_f16_sdwa v60, v46, v7 dst_sel:DWORD dst_unused:UNUSED_PAD src0_sel:DWORD src1_sel:WORD_1
	v_add_f16_e32 v6, v9, v6
	v_mul_f16_sdwa v10, v84, v7 dst_sel:DWORD dst_unused:UNUSED_PAD src0_sel:DWORD src1_sel:WORD_1
	v_fmac_f16_e32 v50, v86, v8
	v_fmamk_f16 v9, v88, 0x3a95, v64
	v_fmac_f16_e32 v60, v84, v7
	v_mul_f16_sdwa v84, v86, v8 dst_sel:DWORD dst_unused:UNUSED_PAD src0_sel:DWORD src1_sel:WORD_1
	v_mul_f16_sdwa v51, v44, v3 dst_sel:DWORD dst_unused:UNUSED_PAD src0_sel:DWORD src1_sel:WORD_1
	;; [unrolled: 1-line block ×3, first 2 shown]
	v_add_f16_e32 v9, v9, v6
	v_add_f16_e32 v6, v60, v50
	v_fma_f16 v89, v46, v7, -v10
	v_fma_f16 v49, v49, v8, -v84
	v_fmac_f16_e32 v51, v81, v3
	v_fmac_f16_e32 v86, v83, v0
	v_mul_f16_sdwa v8, v83, v0 dst_sel:DWORD dst_unused:UNUSED_PAD src0_sel:DWORD src1_sel:WORD_1
	v_mul_f16_sdwa v10, v81, v3 dst_sel:DWORD dst_unused:UNUSED_PAD src0_sel:DWORD src1_sel:WORD_1
	v_mul_f16_e32 v81, 0xbbc4, v6
	v_sub_f16_e32 v83, v89, v49
	v_add_f16_e32 v7, v86, v51
	v_fma_f16 v84, v41, v0, -v8
	v_fma_f16 v90, v44, v3, -v10
	v_sub_f16_e32 v95, v55, v53
	v_fmamk_f16 v0, v83, 0xb3a8, v81
	v_mul_f16_e32 v93, 0x3b15, v7
	v_mul_f16_sdwa v91, v43, v2 dst_sel:DWORD dst_unused:UNUSED_PAD src0_sel:DWORD src1_sel:WORD_1
	v_sub_f16_e32 v94, v84, v90
	v_mul_f16_sdwa v92, v42, v1 dst_sel:DWORD dst_unused:UNUSED_PAD src0_sel:DWORD src1_sel:WORD_1
	v_add_f16_e32 v8, v0, v9
	v_add_f16_e32 v3, v58, v47
	v_mul_f16_e32 v96, 0xb94e, v95
	v_fmamk_f16 v9, v94, 0xb770, v93
	v_sub_f16_e32 v97, v56, v54
	v_fmac_f16_e32 v91, v80, v2
	v_fmac_f16_e32 v92, v82, v1
	v_mul_f16_sdwa v10, v82, v1 dst_sel:DWORD dst_unused:UNUSED_PAD src0_sel:DWORD src1_sel:WORD_1
	v_add_f16_e32 v41, v9, v8
	v_fmamk_f16 v9, v3, 0xb9fd, v96
	v_add_f16_e32 v8, v61, v48
	v_mul_f16_e32 v99, 0x3bf1, v97
	v_sub_f16_e32 v82, v57, v52
	v_mul_f16_sdwa v44, v80, v2 dst_sel:DWORD dst_unused:UNUSED_PAD src0_sel:DWORD src1_sel:WORD_1
	v_add_f16_e32 v0, v92, v91
	v_add_f16_e32 v46, v73, v9
	v_fmamk_f16 v80, v8, 0x2fb7, v99
	v_add_f16_e32 v9, v59, v45
	v_mul_f16_e32 v100, 0xba95, v82
	v_fma_f16 v101, v42, v1, -v10
	v_sub_f16_e32 v102, v60, v50
	v_fma_f16 v103, v43, v2, -v44
	v_mul_f16_e32 v98, 0xb5ac, v0
	v_add_f16_e32 v1, v80, v46
	v_fmamk_f16 v10, v9, 0x388b, v100
	v_add_f16_e32 v2, v89, v49
	v_mul_f16_e32 v80, 0x33a8, v102
	v_sub_f16_e32 v104, v101, v103
	v_sub_f16_e32 v105, v86, v51
	v_mul_f16_e32 v43, 0xbbc4, v4
	v_add_f16_e32 v1, v10, v1
	v_fmamk_f16 v42, v2, 0xbbc4, v80
	v_add_f16_e32 v10, v84, v90
	v_mul_f16_e32 v106, 0x3770, v105
	v_fmamk_f16 v44, v62, 0x33a8, v43
	v_mul_f16_e32 v46, 0x3b15, v11
	v_fmamk_f16 v107, v104, 0x3b7b, v98
	v_add_f16_e32 v42, v42, v1
	v_fmamk_f16 v108, v10, 0x3b15, v106
	v_add_f16_e32 v44, v74, v44
	v_fmamk_f16 v109, v87, 0xb770, v46
	v_mul_f16_e32 v110, 0xb9fd, v5
	v_add_f16_e32 v1, v107, v41
	v_sub_f16_e32 v107, v92, v91
	v_add_f16_e32 v42, v108, v42
	v_add_f16_e32 v44, v109, v44
	v_fmamk_f16 v108, v88, 0x394e, v110
	v_mul_f16_e32 v109, 0x388b, v6
	v_add_f16_e32 v41, v101, v103
	v_mul_f16_e32 v111, 0xbb7b, v107
	v_mul_f16_e32 v112, 0xb3a8, v95
	v_add_f16_e32 v44, v108, v44
	v_fmamk_f16 v108, v83, 0xba95, v109
	v_mul_f16_e32 v113, 0xb5ac, v7
	v_fmamk_f16 v114, v41, 0xb5ac, v111
	v_fmamk_f16 v115, v3, 0xbbc4, v112
	v_mul_f16_e32 v116, 0x3770, v97
	v_add_f16_e32 v44, v108, v44
	v_fmamk_f16 v108, v94, 0x3b7b, v113
	v_add_f16_e32 v42, v114, v42
	v_add_f16_e32 v114, v73, v115
	v_fmamk_f16 v115, v8, 0x3b15, v116
	v_mul_f16_e32 v117, 0xb94e, v82
	v_add_f16_e32 v44, v108, v44
	v_mul_f16_e32 v108, 0x2fb7, v0
	v_fmac_f16_e32 v43, 0xb3a8, v62
	v_add_f16_e32 v114, v115, v114
	v_fmamk_f16 v115, v9, 0xb9fd, v117
	v_mul_f16_e32 v118, 0x3a95, v102
	v_fmamk_f16 v119, v104, 0xbbf1, v108
	v_add_f16_e32 v120, v74, v43
	v_fmac_f16_e32 v46, 0x3770, v87
	v_add_f16_e32 v114, v115, v114
	v_fmamk_f16 v115, v2, 0x388b, v118
	v_mul_f16_e32 v121, 0xbb7b, v105
	v_add_f16_e32 v43, v119, v44
	v_add_f16_e32 v44, v46, v120
	v_fmac_f16_e32 v110, 0xb94e, v88
	v_add_f16_e32 v46, v115, v114
	v_fmamk_f16 v114, v10, 0xb5ac, v121
	v_mul_f16_e32 v115, 0x3bf1, v107
	v_fma_f16 v112, v3, 0xbbc4, -v112
	v_add_f16_e32 v44, v110, v44
	v_fmac_f16_e32 v109, 0x3a95, v83
	v_add_f16_e32 v46, v114, v46
	v_fmamk_f16 v110, v41, 0x2fb7, v115
	v_add_f16_e32 v112, v73, v112
	v_fma_f16 v114, v8, 0x3b15, -v116
	v_fmac_f16_e32 v63, 0xb94e, v62
	v_add_f16_e32 v109, v109, v44
	v_fmac_f16_e32 v113, 0xbb7b, v94
	v_add_f16_e32 v44, v110, v46
	v_add_f16_e32 v46, v114, v112
	v_fma_f16 v110, v9, 0xb9fd, -v117
	v_add_f16_e32 v63, v74, v63
	v_fmac_f16_e32 v85, 0x3bf1, v87
	v_add_f16_e32 v109, v113, v109
	v_fmac_f16_e32 v108, 0x3bf1, v104
	v_add_f16_e32 v110, v110, v46
	v_fma_f16 v112, v2, 0x388b, -v118
	v_fma_f16 v96, v3, 0xb9fd, -v96
	v_add_f16_e32 v63, v85, v63
	v_fmac_f16_e32 v64, 0xba95, v88
	v_add_f16_e32 v46, v108, v109
	v_add_f16_e32 v85, v112, v110
	v_fma_f16 v108, v10, 0xb5ac, -v121
	v_add_f16_e32 v96, v73, v96
	v_fma_f16 v99, v8, 0x2fb7, -v99
	v_add_f16_e32 v63, v64, v63
	v_fmac_f16_e32 v81, 0x33a8, v83
	v_add_f16_e32 v64, v108, v85
	v_fma_f16 v85, v41, 0x2fb7, -v115
	v_add_f16_e32 v96, v99, v96
	v_fma_f16 v99, v9, 0x388b, -v100
	v_add_f16_e32 v63, v81, v63
	v_fmac_f16_e32 v93, 0x3770, v94
	v_mul_f16_e32 v81, 0xbb7b, v62
	v_add_f16_e32 v64, v85, v64
	v_add_f16_e32 v85, v99, v96
	v_fma_f16 v80, v2, 0xbbc4, -v80
	v_add_f16_e32 v63, v93, v63
	v_fmamk_f16 v93, v4, 0xb5ac, v81
	v_mul_f16_e32 v96, 0x394e, v87
	v_add_f16_e32 v58, v73, v58
	v_fmac_f16_e32 v98, 0xbb7b, v104
	v_add_f16_e32 v80, v80, v85
	v_fma_f16 v85, v10, 0x3b15, -v106
	v_add_f16_e32 v93, v74, v93
	v_fmamk_f16 v99, v11, 0xb9fd, v96
	v_mul_f16_e32 v100, 0x3770, v88
	v_add_f16_e32 v58, v58, v61
	v_add_f16_e32 v55, v74, v55
	;; [unrolled: 1-line block ×4, first 2 shown]
	v_mul_f16_e32 v85, 0xbb7b, v95
	v_add_f16_e32 v93, v99, v93
	v_fmamk_f16 v98, v5, 0x3b15, v100
	v_mul_f16_e32 v99, 0xbbf1, v83
	v_mul_f16_e32 v61, 0xb770, v95
	v_add_f16_e32 v58, v58, v59
	v_add_f16_e32 v55, v55, v56
	v_fma_f16 v108, v3, 0xb5ac, -v85
	v_mul_f16_e32 v109, 0x394e, v97
	v_add_f16_e32 v93, v98, v93
	v_fmamk_f16 v98, v6, 0x2fb7, v99
	v_mul_f16_e32 v110, 0x33a8, v94
	v_fma_f16 v56, v3, 0x3b15, -v61
	v_mul_f16_e32 v59, 0xba95, v97
	v_add_f16_e32 v58, v58, v89
	v_add_f16_e32 v55, v55, v57
	v_fma_f16 v106, v41, 0xb5ac, -v111
	v_add_f16_e32 v108, v73, v108
	v_fma_f16 v111, v8, 0xb9fd, -v109
	v_mul_f16_e32 v112, 0x3770, v82
	v_add_f16_e32 v93, v98, v93
	v_fmamk_f16 v98, v7, 0xbbc4, v110
	v_mul_f16_e32 v126, 0x3b7b, v82
	v_mul_f16_e32 v139, 0xb3a8, v82
	v_add_f16_e32 v56, v73, v56
	v_fma_f16 v57, v8, 0x388b, -v59
	v_mul_f16_e32 v82, 0xbbf1, v82
	v_add_f16_e32 v58, v58, v84
	v_add_f16_e32 v55, v55, v60
	;; [unrolled: 1-line block ×4, first 2 shown]
	v_fma_f16 v108, v9, 0x3b15, -v112
	v_mul_f16_e32 v111, 0xbbf1, v102
	v_add_f16_e32 v93, v98, v93
	v_mul_f16_e32 v98, 0x3a95, v104
	v_mul_f16_e32 v113, 0xbbf1, v62
	v_add_f16_e32 v56, v57, v56
	v_fma_f16 v57, v9, 0x2fb7, -v82
	v_add_f16_e32 v58, v58, v101
	v_add_f16_e32 v55, v55, v86
	;; [unrolled: 1-line block ×3, first 2 shown]
	v_fma_f16 v108, v2, 0x2fb7, -v111
	v_mul_f16_e32 v114, 0x33a8, v105
	v_fmamk_f16 v115, v0, 0x388b, v98
	v_fmamk_f16 v116, v4, 0x2fb7, v113
	v_mul_f16_e32 v117, 0xb3a8, v87
	v_add_f16_e32 v56, v57, v56
	v_add_f16_e32 v57, v58, v103
	;; [unrolled: 1-line block ×4, first 2 shown]
	v_fma_f16 v108, v10, 0xbbc4, -v114
	v_add_f16_e32 v93, v115, v93
	v_add_f16_e32 v115, v74, v116
	v_fmamk_f16 v116, v11, 0xbbc4, v117
	v_mul_f16_e32 v118, 0x3b7b, v88
	v_mul_f16_e32 v119, 0xbbf1, v95
	v_add_f16_e32 v57, v57, v90
	v_add_f16_e32 v55, v55, v91
	;; [unrolled: 1-line block ×3, first 2 shown]
	v_mul_f16_e32 v108, 0x3a95, v107
	v_add_f16_e32 v115, v116, v115
	v_fmamk_f16 v116, v5, 0xb5ac, v118
	v_mul_f16_e32 v120, 0x3770, v83
	v_fma_f16 v122, v3, 0x2fb7, -v119
	v_mul_f16_e32 v123, 0xb3a8, v97
	v_add_f16_e32 v49, v57, v49
	v_add_f16_e32 v51, v55, v51
	v_fma_f16 v55, v4, 0xb5ac, -v81
	v_fma_f16 v121, v41, 0x388b, -v108
	v_add_f16_e32 v115, v116, v115
	v_fmamk_f16 v116, v6, 0x3b15, v120
	v_mul_f16_e32 v124, 0xba95, v94
	v_add_f16_e32 v122, v73, v122
	v_fma_f16 v125, v8, 0xbbc4, -v123
	v_add_f16_e32 v45, v49, v45
	v_add_f16_e32 v49, v51, v50
	;; [unrolled: 1-line block ×3, first 2 shown]
	v_fma_f16 v51, v11, 0xb9fd, -v96
	v_fmac_f16_e32 v85, 0xb5ac, v3
	v_add_f16_e32 v115, v116, v115
	v_fmamk_f16 v116, v7, 0x388b, v124
	v_add_f16_e32 v106, v121, v106
	v_add_f16_e32 v121, v125, v122
	v_fma_f16 v122, v9, 0xb5ac, -v126
	v_mul_f16_e32 v125, 0x3770, v102
	v_add_f16_e32 v45, v45, v48
	v_add_f16_e32 v48, v49, v52
	;; [unrolled: 1-line block ×3, first 2 shown]
	v_fma_f16 v50, v5, 0x3b15, -v100
	v_add_f16_e32 v51, v73, v85
	v_fmac_f16_e32 v109, 0xb9fd, v8
	v_add_f16_e32 v115, v116, v115
	v_mul_f16_e32 v116, 0xba95, v62
	v_add_f16_e32 v121, v122, v121
	v_fma_f16 v122, v2, 0x3b15, -v125
	v_mul_f16_e32 v128, 0xba95, v105
	v_add_f16_e32 v45, v45, v47
	v_add_f16_e32 v47, v48, v54
	;; [unrolled: 1-line block ×3, first 2 shown]
	v_fma_f16 v49, v6, 0x2fb7, -v99
	v_add_f16_e32 v50, v109, v51
	v_fmac_f16_e32 v112, 0x3b15, v9
	v_fma_f16 v51, v4, 0x2fb7, -v113
	v_mul_f16_e32 v127, 0xb94e, v104
	v_fmamk_f16 v129, v4, 0x388b, v116
	v_mul_f16_e32 v130, 0xbb7b, v87
	v_add_f16_e32 v121, v122, v121
	v_fma_f16 v122, v10, 0x388b, -v128
	v_add_f16_e32 v48, v49, v48
	v_fma_f16 v49, v7, 0xbbc4, -v110
	v_add_f16_e32 v50, v112, v50
	v_fmac_f16_e32 v111, 0x2fb7, v2
	v_add_f16_e32 v51, v74, v51
	v_fma_f16 v52, v11, 0xbbc4, -v117
	v_fmamk_f16 v131, v0, 0xb9fd, v127
	v_add_f16_e32 v129, v74, v129
	v_fmamk_f16 v132, v11, 0xb5ac, v130
	v_mul_f16_e32 v133, 0xb3a8, v88
	v_add_f16_e32 v121, v122, v121
	v_mul_f16_e32 v122, 0xba95, v95
	v_add_f16_e32 v48, v49, v48
	v_fma_f16 v49, v0, 0x388b, -v98
	v_add_f16_e32 v50, v111, v50
	v_fmac_f16_e32 v114, 0xbbc4, v10
	v_add_f16_e32 v51, v52, v51
	v_fma_f16 v52, v5, 0xb5ac, -v118
	v_fmac_f16_e32 v119, 0x2fb7, v3
	v_add_f16_e32 v115, v131, v115
	v_add_f16_e32 v129, v132, v129
	v_fmamk_f16 v131, v5, 0xbbc4, v133
	v_mul_f16_e32 v132, 0x394e, v83
	v_fma_f16 v135, v3, 0x388b, -v122
	v_mul_f16_e32 v136, 0xbb7b, v97
	v_add_f16_e32 v47, v47, v53
	v_add_f16_e32 v48, v49, v48
	v_add_f16_e32 v49, v114, v50
	v_add_f16_e32 v50, v52, v51
	v_fma_f16 v51, v6, 0x3b15, -v120
	v_add_f16_e32 v52, v73, v119
	v_fmac_f16_e32 v123, 0xbbc4, v8
	v_fma_f16 v53, v4, 0x388b, -v116
	v_add_f16_e32 v129, v131, v129
	v_fmamk_f16 v131, v6, 0xb9fd, v132
	v_mul_f16_e32 v137, 0x3bf1, v94
	v_add_f16_e32 v135, v73, v135
	v_fma_f16 v138, v8, 0xb5ac, -v136
	v_add_f16_e32 v50, v51, v50
	v_fma_f16 v51, v7, 0x388b, -v124
	v_add_f16_e32 v52, v123, v52
	v_fmac_f16_e32 v126, 0xb5ac, v9
	v_add_f16_e32 v53, v74, v53
	v_fma_f16 v54, v11, 0xb5ac, -v130
	v_add_f16_e32 v129, v131, v129
	v_fmamk_f16 v131, v7, 0x2fb7, v137
	v_add_f16_e32 v135, v138, v135
	v_fma_f16 v138, v9, 0xbbc4, -v139
	v_mul_f16_e32 v141, 0x394e, v102
	v_mul_f16_e32 v62, 0xb770, v62
	v_add_f16_e32 v50, v51, v50
	v_fma_f16 v51, v0, 0xb9fd, -v127
	v_add_f16_e32 v52, v126, v52
	v_fmac_f16_e32 v125, 0x3b15, v2
	v_add_f16_e32 v53, v54, v53
	v_fma_f16 v54, v5, 0xbbc4, -v133
	v_add_f16_e32 v129, v131, v129
	v_add_f16_e32 v131, v138, v135
	v_fma_f16 v135, v2, 0xb9fd, -v141
	v_mul_f16_e32 v138, 0x3bf1, v105
	v_fmamk_f16 v142, v4, 0x3b15, v62
	v_mul_f16_e32 v87, 0xba95, v87
	v_add_f16_e32 v50, v51, v50
	v_add_f16_e32 v51, v125, v52
	;; [unrolled: 1-line block ×3, first 2 shown]
	v_fma_f16 v53, v6, 0xb9fd, -v132
	v_add_f16_e32 v131, v135, v131
	v_fma_f16 v135, v10, 0x2fb7, -v138
	v_mul_f16_e32 v143, 0x3770, v107
	v_add_f16_e32 v142, v74, v142
	v_fmamk_f16 v144, v11, 0x388b, v87
	v_mul_f16_e32 v88, 0xbbf1, v88
	v_fmac_f16_e32 v122, 0x388b, v3
	v_add_f16_e32 v52, v53, v52
	v_fma_f16 v53, v7, 0x2fb7, -v137
	v_fma_f16 v4, v4, 0x3b15, -v62
	v_fmac_f16_e32 v61, 0x3b15, v3
	v_add_f16_e32 v131, v135, v131
	v_fma_f16 v135, v41, 0x3b15, -v143
	v_add_f16_e32 v142, v144, v142
	v_fmamk_f16 v144, v5, 0x2fb7, v88
	v_mul_f16_e32 v83, 0xbb7b, v83
	v_mul_f16_e32 v84, 0xbb7b, v102
	;; [unrolled: 1-line block ×3, first 2 shown]
	v_add_f16_e32 v54, v73, v122
	v_fmac_f16_e32 v136, 0xb5ac, v8
	v_add_f16_e32 v52, v53, v52
	v_add_f16_e32 v4, v74, v4
	v_fma_f16 v11, v11, 0x388b, -v87
	v_add_f16_e32 v53, v73, v61
	v_fmac_f16_e32 v59, 0x388b, v8
	v_add_f16_e32 v131, v135, v131
	v_add_f16_e32 v135, v144, v142
	v_fmamk_f16 v142, v6, 0xb5ac, v83
	v_mul_f16_e32 v94, 0xb94e, v94
	v_fma_f16 v58, v2, 0xb5ac, -v84
	v_mul_f16_e32 v89, 0xb94e, v105
	v_fma_f16 v140, v41, 0xb9fd, -v134
	v_fmac_f16_e32 v139, 0xbbc4, v9
	v_fmac_f16_e32 v82, 0x2fb7, v9
	v_lshrrev_b32_e32 v9, 2, v16
	v_add_f16_e32 v54, v136, v54
	v_add_f16_e32 v4, v11, v4
	v_fma_f16 v5, v5, 0x2fb7, -v88
	v_add_f16_e32 v11, v59, v53
	v_add_f16_e32 v95, v142, v135
	v_fmamk_f16 v135, v7, 0xb9fd, v94
	v_mul_f16_e32 v60, 0xb3a8, v104
	v_add_f16_e32 v56, v58, v56
	v_fma_f16 v58, v10, 0xb9fd, -v89
	v_mul_f16_e32 v90, 0xb3a8, v107
	v_add_f16_e32 v121, v140, v121
	v_mul_f16_e32 v140, 0x3770, v104
	v_fmac_f16_e32 v141, 0xb9fd, v2
	v_fmac_f16_e32 v84, 0xb5ac, v2
	v_mul_lo_u32 v2, v9, 52
	v_add_f16_e32 v3, v139, v54
	v_add_f16_e32 v4, v5, v4
	v_fma_f16 v5, v6, 0xb5ac, -v83
	v_add_f16_e32 v6, v82, v11
	v_add_f16_e32 v95, v135, v95
	v_fmamk_f16 v86, v0, 0xbbc4, v60
	v_add_f16_e32 v56, v58, v56
	v_fma_f16 v57, v41, 0xbbc4, -v90
	v_fmamk_f16 v145, v0, 0x3b15, v140
	v_fmac_f16_e32 v128, 0x388b, v10
	v_add_f16_e32 v3, v141, v3
	v_fmac_f16_e32 v138, 0x2fb7, v10
	v_add_f16_e32 v4, v5, v4
	v_fma_f16 v5, v7, 0xb9fd, -v94
	v_add_f16_e32 v6, v84, v6
	v_fmac_f16_e32 v89, 0xb9fd, v10
	v_add_f16_e32 v86, v86, v95
	v_add_f16_e32 v55, v57, v56
	v_or_b32_e32 v2, v2, v75
	v_add_f16_e32 v129, v145, v129
	v_fmac_f16_e32 v108, 0x388b, v41
	v_add_f16_e32 v51, v128, v51
	v_fmac_f16_e32 v134, 0xb9fd, v41
	v_fma_f16 v8, v0, 0x3b15, -v140
	v_add_f16_e32 v3, v138, v3
	v_fmac_f16_e32 v143, 0x3b15, v41
	v_add_f16_e32 v4, v5, v4
	v_fma_f16 v0, v0, 0xbbc4, -v60
	v_add_f16_e32 v5, v89, v6
	v_fmac_f16_e32 v90, 0xbbc4, v41
	v_lshl_add_u32 v2, v2, 2, 0
	v_pack_b32_f16 v6, v45, v47
	v_pack_b32_f16 v7, v55, v86
	;; [unrolled: 1-line block ×4, first 2 shown]
	v_add_f16_e32 v49, v108, v49
	v_add_f16_e32 v51, v134, v51
	;; [unrolled: 1-line block ×6, first 2 shown]
	ds_write2_b32 v2, v6, v7 offset1:4
	ds_write2_b32 v2, v9, v10 offset0:8 offset1:12
	v_pack_b32_f16 v5, v106, v93
	v_pack_b32_f16 v6, v80, v63
	;; [unrolled: 1-line block ×9, first 2 shown]
	ds_write2_b32 v2, v5, v6 offset0:16 offset1:20
	ds_write2_b32 v2, v7, v9 offset0:24 offset1:28
	;; [unrolled: 1-line block ×4, first 2 shown]
	ds_write_b32 v2, v0 offset:192
.LBB0_23:
	s_or_b32 exec_lo, exec_lo, s4
	v_mul_u32_u24_e32 v0, 6, v12
	s_waitcnt lgkmcnt(0)
	s_barrier
	buffer_gl0_inv
	v_add_nc_u32_e32 v60, 0x800, v65
	v_lshlrev_b32_e32 v0, 2, v0
	v_add_nc_u32_e32 v41, 0xe00, v65
	v_add_nc_u32_e32 v58, v38, v79
	;; [unrolled: 1-line block ×4, first 2 shown]
	s_clause 0x1
	global_load_dwordx4 v[4:7], v0, s[8:9] offset:200
	global_load_dwordx2 v[54:55], v0, s[8:9] offset:216
	v_and_b32_e32 v0, 0xff, v30
	v_add_nc_u32_e32 v62, 0x400, v65
	v_add_nc_u32_e32 v56, v69, v78
	;; [unrolled: 1-line block ×4, first 2 shown]
	v_mul_lo_u16 v0, 0x4f, v0
	v_mov_b32_e32 v32, 0
	s_add_u32 s4, s8, 0x1108
	s_addc_u32 s5, s9, 0
	s_mov_b32 s6, exec_lo
	v_lshrrev_b16 v0, 12, v0
	v_lshlrev_b64 v[73:74], 2, v[31:32]
	v_mul_lo_u16 v0, v0, 52
	v_sub_nc_u16 v0, v30, v0
	v_and_b32_e32 v75, 0xff, v0
	v_mul_u32_u24_e32 v0, 6, v75
	v_lshl_add_u32 v75, v75, 2, 0
	v_lshlrev_b32_e32 v8, 2, v0
	v_add_nc_u32_e32 v96, 0xa00, v75
	v_add_nc_u32_e32 v97, 0xc00, v75
	s_clause 0x1
	global_load_dwordx4 v[0:3], v8, s[8:9] offset:200
	global_load_dwordx2 v[8:9], v8, s[8:9] offset:216
	ds_read2_b32 v[52:53], v65 offset1:208
	ds_read2_b32 v[42:43], v60 offset0:60 offset1:112
	ds_read2_b32 v[63:64], v61 offset0:12 offset1:64
	ds_read2_b32 v[10:11], v61 offset0:116 offset1:168
	ds_read2_b32 v[50:51], v62 offset0:4 offset1:108
	ds_read2_b32 v[48:49], v38 offset0:32 offset1:136
	ds_read2_b32 v[46:47], v60 offset0:164 offset1:216
	ds_read2_b32 v[44:45], v41 offset0:92 offset1:144
	ds_read_b32 v34, v19
	ds_read_b32 v69, v58
	;; [unrolled: 1-line block ×5, first 2 shown]
	v_add_nc_u32_e32 v38, 0x200, v65
	s_waitcnt vmcnt(0) lgkmcnt(0)
	s_barrier
	buffer_gl0_inv
	v_mov_b32_e32 v41, v32
	v_lshrrev_b32_e32 v79, 16, v43
	v_lshrrev_b32_e32 v80, 16, v63
	;; [unrolled: 1-line block ×18, first 2 shown]
	v_mul_f16_sdwa v98, v4, v93 dst_sel:DWORD dst_unused:UNUSED_PAD src0_sel:WORD_1 src1_sel:DWORD
	v_mul_f16_sdwa v99, v4, v69 dst_sel:DWORD dst_unused:UNUSED_PAD src0_sel:WORD_1 src1_sel:DWORD
	;; [unrolled: 1-line block ×6, first 2 shown]
	v_mul_f16_sdwa v104, v79, v7 dst_sel:DWORD dst_unused:UNUSED_PAD src0_sel:DWORD src1_sel:WORD_1
	v_mul_f16_sdwa v105, v43, v7 dst_sel:DWORD dst_unused:UNUSED_PAD src0_sel:DWORD src1_sel:WORD_1
	v_mul_f16_sdwa v106, v80, v54 dst_sel:DWORD dst_unused:UNUSED_PAD src0_sel:DWORD src1_sel:WORD_1
	v_mul_f16_sdwa v107, v63, v54 dst_sel:DWORD dst_unused:UNUSED_PAD src0_sel:DWORD src1_sel:WORD_1
	v_mul_f16_sdwa v108, v81, v55 dst_sel:DWORD dst_unused:UNUSED_PAD src0_sel:DWORD src1_sel:WORD_1
	v_mul_f16_sdwa v109, v11, v55 dst_sel:DWORD dst_unused:UNUSED_PAD src0_sel:DWORD src1_sel:WORD_1
	v_mul_f16_sdwa v110, v31, v4 dst_sel:DWORD dst_unused:UNUSED_PAD src0_sel:DWORD src1_sel:WORD_1
	v_mul_f16_sdwa v111, v53, v4 dst_sel:DWORD dst_unused:UNUSED_PAD src0_sel:DWORD src1_sel:WORD_1
	v_mul_f16_sdwa v112, v82, v5 dst_sel:DWORD dst_unused:UNUSED_PAD src0_sel:DWORD src1_sel:WORD_1
	v_mul_f16_sdwa v113, v51, v5 dst_sel:DWORD dst_unused:UNUSED_PAD src0_sel:DWORD src1_sel:WORD_1
	v_mul_f16_sdwa v114, v83, v6 dst_sel:DWORD dst_unused:UNUSED_PAD src0_sel:DWORD src1_sel:WORD_1
	v_mul_f16_sdwa v115, v49, v6 dst_sel:DWORD dst_unused:UNUSED_PAD src0_sel:DWORD src1_sel:WORD_1
	v_mul_f16_sdwa v116, v84, v7 dst_sel:DWORD dst_unused:UNUSED_PAD src0_sel:DWORD src1_sel:WORD_1
	v_mul_f16_sdwa v117, v46, v7 dst_sel:DWORD dst_unused:UNUSED_PAD src0_sel:DWORD src1_sel:WORD_1
	v_mul_f16_sdwa v118, v85, v54 dst_sel:DWORD dst_unused:UNUSED_PAD src0_sel:DWORD src1_sel:WORD_1
	v_mul_f16_sdwa v119, v64, v54 dst_sel:DWORD dst_unused:UNUSED_PAD src0_sel:DWORD src1_sel:WORD_1
	v_mul_f16_sdwa v120, v86, v55 dst_sel:DWORD dst_unused:UNUSED_PAD src0_sel:DWORD src1_sel:WORD_1
	v_mul_f16_sdwa v121, v44, v55 dst_sel:DWORD dst_unused:UNUSED_PAD src0_sel:DWORD src1_sel:WORD_1
	v_fma_f16 v69, v4, v69, -v98
	v_fmac_f16_e32 v99, v4, v93
	v_fma_f16 v76, v5, v76, -v100
	v_fmac_f16_e32 v101, v5, v94
	v_fma_f16 v77, v6, v77, -v102
	v_fmac_f16_e32 v103, v6, v95
	v_fma_f16 v43, v43, v7, -v104
	v_fmac_f16_e32 v105, v79, v7
	v_fma_f16 v63, v63, v54, -v106
	v_fmac_f16_e32 v107, v80, v54
	v_fma_f16 v11, v11, v55, -v108
	v_fmac_f16_e32 v109, v81, v55
	v_fma_f16 v53, v53, v4, -v110
	v_fmac_f16_e32 v111, v31, v4
	v_fma_f16 v4, v51, v5, -v112
	v_fmac_f16_e32 v113, v82, v5
	v_fma_f16 v5, v49, v6, -v114
	v_fmac_f16_e32 v115, v83, v6
	v_fma_f16 v6, v46, v7, -v116
	v_fmac_f16_e32 v117, v84, v7
	v_fma_f16 v7, v64, v54, -v118
	v_fmac_f16_e32 v119, v85, v54
	v_fma_f16 v31, v44, v55, -v120
	v_fmac_f16_e32 v121, v86, v55
	v_add_f16_e32 v44, v69, v11
	v_add_f16_e32 v46, v99, v109
	v_sub_f16_e32 v11, v69, v11
	v_sub_f16_e32 v49, v99, v109
	v_add_f16_e32 v51, v76, v63
	v_add_f16_e32 v54, v101, v107
	v_sub_f16_e32 v55, v76, v63
	v_sub_f16_e32 v63, v101, v107
	;; [unrolled: 4-line block ×3, first 2 shown]
	v_add_f16_e32 v77, v53, v31
	v_add_f16_e32 v79, v111, v121
	;; [unrolled: 1-line block ×4, first 2 shown]
	v_sub_f16_e32 v31, v53, v31
	v_sub_f16_e32 v53, v111, v121
	;; [unrolled: 1-line block ×4, first 2 shown]
	v_add_f16_e32 v82, v5, v6
	v_add_f16_e32 v83, v115, v117
	v_sub_f16_e32 v5, v6, v5
	v_sub_f16_e32 v6, v117, v115
	v_add_f16_e32 v84, v51, v44
	v_add_f16_e32 v85, v54, v46
	v_sub_f16_e32 v86, v51, v44
	v_sub_f16_e32 v93, v54, v46
	;; [unrolled: 1-line block ×6, first 2 shown]
	v_add_f16_e32 v94, v43, v55
	v_add_f16_e32 v95, v76, v63
	v_sub_f16_e32 v98, v43, v55
	v_sub_f16_e32 v99, v76, v63
	;; [unrolled: 1-line block ×4, first 2 shown]
	v_add_f16_e32 v100, v80, v77
	v_add_f16_e32 v101, v81, v79
	v_sub_f16_e32 v43, v11, v43
	v_sub_f16_e32 v76, v49, v76
	;; [unrolled: 1-line block ×8, first 2 shown]
	v_add_f16_e32 v104, v5, v4
	v_add_f16_e32 v105, v6, v7
	v_sub_f16_e32 v106, v5, v4
	v_sub_f16_e32 v107, v6, v7
	;; [unrolled: 1-line block ×4, first 2 shown]
	v_add_f16_e32 v64, v64, v84
	v_add_f16_e32 v69, v69, v85
	;; [unrolled: 1-line block ×4, first 2 shown]
	v_mul_f16_e32 v44, 0x3a52, v44
	v_mul_f16_e32 v46, 0x3a52, v46
	v_mul_f16_e32 v84, 0x2b26, v51
	v_mul_f16_e32 v85, 0x2b26, v54
	v_mul_f16_e32 v94, 0xb846, v98
	v_mul_f16_e32 v95, 0xb846, v99
	v_mul_f16_e32 v98, 0x3b00, v55
	v_mul_f16_e32 v99, 0x3b00, v63
	v_add_f16_e32 v82, v82, v100
	v_add_f16_e32 v83, v83, v101
	v_sub_f16_e32 v5, v31, v5
	v_sub_f16_e32 v6, v53, v6
	v_add_f16_e32 v31, v104, v31
	v_add_f16_e32 v53, v105, v53
	v_mul_f16_e32 v77, 0x3a52, v77
	v_mul_f16_e32 v79, 0x3a52, v79
	;; [unrolled: 1-line block ×8, first 2 shown]
	v_add_f16_e32 v108, v64, v52
	v_add_f16_sdwa v52, v69, v52 dst_sel:DWORD dst_unused:UNUSED_PAD src0_sel:DWORD src1_sel:WORD_1
	v_fmamk_f16 v51, v51, 0x2b26, v44
	v_fmamk_f16 v54, v54, 0x2b26, v46
	v_fma_f16 v84, v86, 0x39e0, -v84
	v_fma_f16 v85, v93, 0x39e0, -v85
	;; [unrolled: 1-line block ×4, first 2 shown]
	v_fmamk_f16 v86, v43, 0x3574, v94
	v_fmamk_f16 v93, v76, 0x3574, v95
	v_fma_f16 v55, v55, 0x3b00, -v94
	v_fma_f16 v63, v63, 0x3b00, -v95
	;; [unrolled: 1-line block ×4, first 2 shown]
	v_add_f16_e32 v94, v82, v34
	v_add_f16_sdwa v34, v83, v34 dst_sel:DWORD dst_unused:UNUSED_PAD src0_sel:DWORD src1_sel:WORD_1
	v_fmamk_f16 v80, v80, 0x2b26, v77
	v_fmamk_f16 v81, v81, 0x2b26, v79
	v_fma_f16 v95, v102, 0x39e0, -v100
	v_fma_f16 v98, v103, 0x39e0, -v101
	;; [unrolled: 1-line block ×4, first 2 shown]
	v_fmamk_f16 v99, v5, 0x3574, v104
	v_fmamk_f16 v100, v6, 0x3574, v105
	v_fma_f16 v4, v4, 0x3b00, -v104
	v_fma_f16 v7, v7, 0x3b00, -v105
	;; [unrolled: 1-line block ×4, first 2 shown]
	v_mul_f16_sdwa v101, v87, v0 dst_sel:DWORD dst_unused:UNUSED_PAD src0_sel:DWORD src1_sel:WORD_1
	v_mul_f16_sdwa v102, v50, v0 dst_sel:DWORD dst_unused:UNUSED_PAD src0_sel:DWORD src1_sel:WORD_1
	;; [unrolled: 1-line block ×12, first 2 shown]
	v_fmamk_f16 v64, v64, 0xbcab, v108
	v_fmamk_f16 v69, v69, 0xbcab, v52
	v_fmac_f16_e32 v86, 0x370e, v11
	v_fmac_f16_e32 v93, 0x370e, v49
	;; [unrolled: 1-line block ×6, first 2 shown]
	v_fmamk_f16 v11, v82, 0xbcab, v94
	v_fmamk_f16 v49, v83, 0xbcab, v34
	v_fmac_f16_e32 v99, 0x370e, v31
	v_fmac_f16_e32 v100, 0x370e, v53
	;; [unrolled: 1-line block ×6, first 2 shown]
	v_pack_b32_f16 v31, v108, v52
	v_fma_f16 v50, v50, v0, -v101
	v_fmac_f16_e32 v102, v87, v0
	v_fma_f16 v0, v48, v1, -v103
	v_fmac_f16_e32 v104, v88, v1
	;; [unrolled: 2-line block ×6, first 2 shown]
	v_add_f16_e32 v9, v51, v64
	v_add_f16_e32 v42, v84, v64
	;; [unrolled: 1-line block ×13, first 2 shown]
	v_sub_f16_e32 v69, v46, v43
	v_sub_f16_e32 v77, v42, v63
	v_add_f16_e32 v79, v55, v45
	v_add_f16_e32 v42, v63, v42
	v_sub_f16_e32 v45, v45, v55
	v_sub_f16_e32 v44, v44, v76
	v_add_f16_e32 v43, v43, v46
	v_add_f16_e32 v46, v100, v47
	v_sub_f16_e32 v55, v48, v99
	v_add_f16_e32 v63, v6, v11
	v_sub_f16_e32 v76, v49, v5
	v_sub_f16_e32 v80, v51, v7
	v_add_f16_e32 v81, v4, v52
	v_add_f16_e32 v7, v7, v51
	v_sub_f16_e32 v4, v52, v4
	v_sub_f16_e32 v6, v11, v6
	v_add_f16_e32 v5, v5, v49
	v_sub_f16_e32 v11, v47, v100
	v_add_f16_e32 v47, v99, v48
	v_add_f16_e32 v48, v50, v8
	;; [unrolled: 1-line block ×6, first 2 shown]
	v_sub_f16_e32 v54, v10, v86
	v_sub_f16_e32 v8, v50, v8
	;; [unrolled: 1-line block ×4, first 2 shown]
	v_add_f16_e32 v82, v1, v2
	v_add_f16_e32 v83, v106, v109
	v_sub_f16_e32 v1, v2, v1
	v_sub_f16_e32 v2, v109, v106
	v_add_f16_e32 v84, v51, v48
	v_add_f16_e32 v85, v52, v49
	v_sub_f16_e32 v50, v102, v113
	v_sub_f16_e32 v9, v9, v93
	v_add_f16_e32 v10, v86, v10
	v_sub_f16_e32 v86, v51, v48
	v_sub_f16_e32 v87, v52, v49
	;; [unrolled: 1-line block ×4, first 2 shown]
	v_add_f16_e32 v88, v1, v0
	v_sub_f16_e32 v90, v1, v0
	v_sub_f16_e32 v91, v2, v3
	v_sub_f16_e32 v0, v0, v8
	v_pack_b32_f16 v53, v53, v54
	v_pack_b32_f16 v4, v7, v4
	;; [unrolled: 1-line block ×4, first 2 shown]
	v_add_f16_e32 v7, v82, v84
	v_add_f16_e32 v11, v83, v85
	v_sub_f16_e32 v51, v82, v51
	v_sub_f16_e32 v52, v83, v52
	v_add_f16_e32 v89, v2, v3
	v_sub_f16_e32 v3, v3, v50
	v_pack_b32_f16 v54, v64, v69
	v_pack_b32_f16 v64, v77, v79
	;; [unrolled: 1-line block ×8, first 2 shown]
	v_sub_f16_e32 v1, v8, v1
	v_sub_f16_e32 v2, v50, v2
	v_pack_b32_f16 v45, v80, v81
	v_mul_f16_e32 v47, 0x3a52, v48
	v_mul_f16_e32 v48, 0x3a52, v49
	v_mul_f16_e32 v55, 0xb846, v90
	v_mul_f16_e32 v63, 0xb846, v91
	v_mul_f16_e32 v69, 0x3b00, v0
	ds_write2_b32 v65, v31, v53 offset1:52
	ds_write2_b32 v65, v54, v64 offset0:104 offset1:156
	ds_write2_b32 v38, v42, v43 offset0:80 offset1:132
	;; [unrolled: 1-line block ×5, first 2 shown]
	v_add_f16_e32 v4, v7, v78
	v_add_f16_sdwa v9, v11, v78 dst_sel:DWORD dst_unused:UNUSED_PAD src0_sel:DWORD src1_sel:WORD_1
	v_add_f16_e32 v46, v89, v50
	v_mul_f16_e32 v49, 0x2b26, v51
	v_mul_f16_e32 v50, 0x2b26, v52
	;; [unrolled: 1-line block ×3, first 2 shown]
	v_add_f16_e32 v8, v88, v8
	v_fmamk_f16 v10, v51, 0x2b26, v47
	v_fmamk_f16 v31, v52, 0x2b26, v48
	;; [unrolled: 1-line block ×4, first 2 shown]
	v_fma_f16 v0, v0, 0x3b00, -v55
	v_fma_f16 v1, v1, 0xb574, -v69
	v_fmamk_f16 v7, v7, 0xbcab, v4
	v_fmamk_f16 v11, v11, 0xbcab, v9
	v_fma_f16 v34, v86, 0x39e0, -v49
	v_fma_f16 v38, v87, 0x39e0, -v50
	;; [unrolled: 1-line block ×6, first 2 shown]
	v_fmac_f16_e32 v44, 0x370e, v8
	v_fmac_f16_e32 v45, 0x370e, v46
	;; [unrolled: 1-line block ×4, first 2 shown]
	v_pack_b32_f16 v4, v4, v9
	v_add_f16_e32 v8, v10, v7
	v_add_f16_e32 v9, v31, v11
	v_fmac_f16_e32 v3, 0x370e, v46
	v_fmac_f16_e32 v2, 0x370e, v46
	v_add_f16_e32 v10, v34, v7
	v_add_f16_e32 v7, v42, v7
	;; [unrolled: 1-line block ×5, first 2 shown]
	v_sub_f16_e32 v38, v9, v44
	v_add_f16_e32 v42, v2, v7
	v_sub_f16_e32 v43, v31, v1
	v_sub_f16_e32 v46, v10, v3
	v_add_f16_e32 v47, v0, v11
	v_add_f16_e32 v3, v3, v10
	v_sub_f16_e32 v0, v11, v0
	v_sub_f16_e32 v2, v7, v2
	v_add_f16_e32 v1, v1, v31
	v_sub_f16_e32 v7, v8, v45
	v_add_f16_e32 v8, v44, v9
	v_pack_b32_f16 v9, v34, v38
	v_pack_b32_f16 v10, v42, v43
	;; [unrolled: 1-line block ×6, first 2 shown]
	ds_write2_b32 v60, v5, v6 offset0:112 offset1:164
	ds_write2_b32 v96, v4, v9 offset0:88 offset1:140
	;; [unrolled: 1-line block ×4, first 2 shown]
	ds_write_b32 v75, v2 offset:4160
	v_lshlrev_b64 v[0:1], 2, v[40:41]
	v_add_co_u32 v2, s1, s8, v73
	v_mov_b32_e32 v40, v32
	v_add_co_ci_u32_e64 v3, s1, s9, v74, s1
	v_add_co_u32 v0, s1, s8, v0
	v_mov_b32_e32 v38, v32
	v_add_co_ci_u32_e64 v1, s1, s9, v1, s1
	v_lshlrev_b64 v[4:5], 2, v[39:40]
	s_waitcnt lgkmcnt(0)
	s_barrier
	buffer_gl0_inv
	s_clause 0x1
	global_load_dwordx2 v[6:7], v[2:3], off offset:1448
	global_load_dwordx2 v[8:9], v[0:1], off offset:1448
	v_lshlrev_b64 v[0:1], 2, v[37:38]
	v_mov_b32_e32 v37, v32
	v_add_co_u32 v2, s1, s8, v4
	v_add_co_ci_u32_e64 v3, s1, s9, v5, s1
	v_lshlrev_b64 v[4:5], 2, v[36:37]
	v_add_co_u32 v0, s1, s8, v0
	v_mov_b32_e32 v36, v32
	v_add_co_ci_u32_e64 v1, s1, s9, v1, s1
	v_add_co_u32 v4, s1, s8, v4
	v_mov_b32_e32 v34, v32
	v_add_co_ci_u32_e64 v5, s1, s9, v5, s1
	v_lshlrev_b64 v[10:11], 2, v[35:36]
	s_clause 0x2
	global_load_dwordx2 v[35:36], v[2:3], off offset:1448
	global_load_dwordx2 v[37:38], v[0:1], off offset:1448
	;; [unrolled: 1-line block ×3, first 2 shown]
	v_lshlrev_b64 v[0:1], 2, v[33:34]
	v_add_nc_u32_e32 v2, v24, v71
	v_add_nc_u32_e32 v49, 0xa00, v65
	v_add_co_u32 v10, s1, s8, v10
	v_add_co_ci_u32_e64 v11, s1, s9, v11, s1
	v_add_co_u32 v0, s1, s8, v0
	v_add_co_ci_u32_e64 v1, s1, s9, v1, s1
	s_clause 0x1
	global_load_dwordx2 v[10:11], v[10:11], off offset:1448
	global_load_dwordx2 v[33:34], v[0:1], off offset:1448
	v_add_nc_u32_e32 v0, v68, v70
	v_add_nc_u32_e32 v1, v67, v72
	ds_read_b32 v5, v65
	ds_read_b32 v24, v19
	;; [unrolled: 1-line block ×5, first 2 shown]
	ds_read2_b32 v[39:40], v62 offset0:160 offset1:212
	ds_read2_b32 v[41:42], v61 offset0:64 offset1:116
	ds_read_b32 v53, v58
	ds_read2_b32 v[43:44], v60 offset0:8 offset1:60
	ds_read2_b32 v[45:46], v61 offset0:168 offset1:220
	;; [unrolled: 1-line block ×3, first 2 shown]
	ds_read_b32 v54, v0
	ds_read_b32 v55, v57
	ds_read2_b32 v[49:50], v49 offset0:88 offset1:140
	ds_read_b32 v60, v65 offset:4160
	s_waitcnt vmcnt(0) lgkmcnt(0)
	s_barrier
	buffer_gl0_inv
	v_lshrrev_b32_e32 v61, 16, v5
	v_lshrrev_b32_e32 v62, 16, v24
	;; [unrolled: 1-line block ×21, first 2 shown]
	v_mul_f16_sdwa v84, v6, v79 dst_sel:DWORD dst_unused:UNUSED_PAD src0_sel:WORD_1 src1_sel:DWORD
	v_mul_f16_sdwa v85, v6, v54 dst_sel:DWORD dst_unused:UNUSED_PAD src0_sel:WORD_1 src1_sel:DWORD
	;; [unrolled: 1-line block ×8, first 2 shown]
	v_fma_f16 v54, v6, v54, -v84
	v_fmac_f16_e32 v85, v6, v79
	v_fma_f16 v6, v7, v49, -v86
	v_fmac_f16_e32 v87, v7, v81
	;; [unrolled: 2-line block ×4, first 2 shown]
	v_add_f16_e32 v39, v54, v6
	v_mul_f16_sdwa v92, v64, v35 dst_sel:DWORD dst_unused:UNUSED_PAD src0_sel:DWORD src1_sel:WORD_1
	v_mul_f16_sdwa v93, v40, v35 dst_sel:DWORD dst_unused:UNUSED_PAD src0_sel:DWORD src1_sel:WORD_1
	v_mul_f16_sdwa v94, v67, v36 dst_sel:DWORD dst_unused:UNUSED_PAD src0_sel:DWORD src1_sel:WORD_1
	v_mul_f16_sdwa v95, v41, v36 dst_sel:DWORD dst_unused:UNUSED_PAD src0_sel:DWORD src1_sel:WORD_1
	v_mul_f16_sdwa v96, v69, v37 dst_sel:DWORD dst_unused:UNUSED_PAD src0_sel:DWORD src1_sel:WORD_1
	v_mul_f16_sdwa v97, v43, v37 dst_sel:DWORD dst_unused:UNUSED_PAD src0_sel:DWORD src1_sel:WORD_1
	v_mul_f16_sdwa v98, v70, v38 dst_sel:DWORD dst_unused:UNUSED_PAD src0_sel:DWORD src1_sel:WORD_1
	v_mul_f16_sdwa v99, v42, v38 dst_sel:DWORD dst_unused:UNUSED_PAD src0_sel:DWORD src1_sel:WORD_1
	v_mul_f16_sdwa v100, v72, v3 dst_sel:DWORD dst_unused:UNUSED_PAD src0_sel:DWORD src1_sel:WORD_1
	v_mul_f16_sdwa v101, v44, v3 dst_sel:DWORD dst_unused:UNUSED_PAD src0_sel:DWORD src1_sel:WORD_1
	v_mul_f16_sdwa v102, v73, v4 dst_sel:DWORD dst_unused:UNUSED_PAD src0_sel:DWORD src1_sel:WORD_1
	v_mul_f16_sdwa v103, v45, v4 dst_sel:DWORD dst_unused:UNUSED_PAD src0_sel:DWORD src1_sel:WORD_1
	v_fma_f16 v9, v40, v35, -v92
	v_fmac_f16_e32 v93, v64, v35
	v_fma_f16 v35, v41, v36, -v94
	v_fmac_f16_e32 v95, v67, v36
	v_mul_f16_sdwa v104, v75, v10 dst_sel:DWORD dst_unused:UNUSED_PAD src0_sel:DWORD src1_sel:WORD_1
	v_mul_f16_sdwa v105, v47, v10 dst_sel:DWORD dst_unused:UNUSED_PAD src0_sel:DWORD src1_sel:WORD_1
	;; [unrolled: 1-line block ×8, first 2 shown]
	v_fma_f16 v36, v43, v37, -v96
	v_fmac_f16_e32 v97, v69, v37
	v_fma_f16 v37, v42, v38, -v98
	v_fmac_f16_e32 v99, v70, v38
	;; [unrolled: 2-line block ×8, first 2 shown]
	v_add_f16_e32 v34, v5, v54
	v_add_f16_e32 v41, v61, v85
	;; [unrolled: 1-line block ×5, first 2 shown]
	v_sub_f16_e32 v40, v85, v87
	v_sub_f16_e32 v43, v54, v6
	v_add_f16_e32 v50, v9, v35
	v_add_f16_e32 v64, v93, v95
	;; [unrolled: 1-line block ×11, first 2 shown]
	v_fmac_f16_e32 v5, -0.5, v39
	v_add_f16_e32 v34, v41, v87
	v_fmac_f16_e32 v61, -0.5, v42
	v_add_f16_e32 v44, v24, v7
	v_add_f16_e32 v47, v62, v89
	v_sub_f16_e32 v46, v89, v91
	v_sub_f16_e32 v7, v7, v8
	v_add_f16_e32 v49, v52, v9
	v_add_f16_e32 v60, v63, v93
	v_fmac_f16_e32 v24, -0.5, v45
	v_fmac_f16_e32 v62, -0.5, v48
	v_sub_f16_e32 v54, v93, v95
	v_sub_f16_e32 v9, v9, v35
	v_add_f16_e32 v67, v53, v36
	v_sub_f16_e32 v70, v97, v99
	v_add_f16_e32 v72, v68, v97
	;; [unrolled: 2-line block ×8, first 2 shown]
	v_sub_f16_e32 v11, v11, v33
	v_fmac_f16_e32 v52, -0.5, v50
	v_fmac_f16_e32 v63, -0.5, v64
	;; [unrolled: 1-line block ×10, first 2 shown]
	v_fmamk_f16 v48, v40, 0x3aee, v5
	v_fmac_f16_e32 v5, 0xbaee, v40
	v_fmamk_f16 v40, v43, 0xbaee, v61
	v_pack_b32_f16 v6, v6, v34
	v_fmac_f16_e32 v61, 0x3aee, v43
	v_add_f16_e32 v8, v44, v8
	v_add_f16_e32 v39, v47, v91
	;; [unrolled: 1-line block ×4, first 2 shown]
	v_fmamk_f16 v43, v46, 0x3aee, v24
	v_fmac_f16_e32 v24, 0xbaee, v46
	v_fmamk_f16 v46, v7, 0xbaee, v62
	v_fmac_f16_e32 v62, 0x3aee, v7
	v_add_f16_e32 v37, v67, v37
	v_add_f16_e32 v42, v72, v99
	;; [unrolled: 1-line block ×8, first 2 shown]
	v_fmamk_f16 v7, v54, 0x3aee, v52
	v_fmac_f16_e32 v52, 0xbaee, v54
	v_fmamk_f16 v49, v9, 0xbaee, v63
	v_fmac_f16_e32 v63, 0x3aee, v9
	;; [unrolled: 2-line block ×10, first 2 shown]
	ds_write_b32 v65, v6
	v_pack_b32_f16 v6, v48, v40
	v_pack_b32_f16 v5, v5, v61
	;; [unrolled: 1-line block ×20, first 2 shown]
	ds_write_b32 v65, v6 offset:1456
	ds_write_b32 v65, v5 offset:2912
	ds_write_b32 v19, v8
	ds_write_b32 v19, v35 offset:1456
	ds_write_b32 v19, v24 offset:2912
	ds_write_b32 v59, v11
	;; [unrolled: 3-line block ×6, first 2 shown]
	ds_write_b32 v57, v4 offset:1456
	ds_write_b32 v57, v41 offset:2912
	s_waitcnt lgkmcnt(0)
	s_barrier
	buffer_gl0_inv
	ds_read_b32 v8, v65
	v_sub_nc_u32_e32 v3, 0, v13
                                        ; implicit-def: $vgpr7
                                        ; implicit-def: $vgpr6
                                        ; implicit-def: $vgpr5
	v_cmpx_ne_u32_e32 0, v12
	s_xor_b32 s6, exec_lo, s6
	s_cbranch_execz .LBB0_25
; %bb.24:
	v_mov_b32_e32 v13, v32
	v_lshlrev_b64 v[4:5], 2, v[12:13]
	v_add_co_u32 v4, s1, s4, v4
	v_add_co_ci_u32_e64 v5, s1, s5, v5, s1
	global_load_dword v4, v[4:5], off
	ds_read_b32 v5, v3 offset:4368
	s_waitcnt lgkmcnt(0)
	v_sub_f16_e32 v6, v8, v5
	v_sub_f16_sdwa v9, v8, v5 dst_sel:DWORD dst_unused:UNUSED_PAD src0_sel:WORD_1 src1_sel:WORD_1
	v_add_f16_sdwa v7, v5, v8 dst_sel:DWORD dst_unused:UNUSED_PAD src0_sel:WORD_1 src1_sel:WORD_1
	v_add_f16_e32 v5, v5, v8
	v_mul_f16_e32 v10, 0.5, v6
	v_mul_f16_e32 v8, 0.5, v9
	;; [unrolled: 1-line block ×3, first 2 shown]
	s_waitcnt vmcnt(0)
	v_lshrrev_b32_e32 v6, 16, v4
	v_mul_f16_e32 v9, v6, v10
	v_fma_f16 v11, v7, v6, v8
	v_fma_f16 v8, v7, v6, -v8
	v_fma_f16 v13, 0.5, v5, v9
	v_fma_f16 v9, v5, 0.5, -v9
	v_fma_f16 v5, -v4, v10, v11
	v_fmac_f16_e32 v13, v4, v7
	v_fma_f16 v6, -v4, v7, v9
	v_fma_f16 v7, -v4, v10, v8
                                        ; implicit-def: $vgpr8
	ds_write_b16 v65, v13
.LBB0_25:
	s_or_saveexec_b32 s1, s6
	v_sub_nc_u32_e32 v4, 0, v17
	s_xor_b32 exec_lo, exec_lo, s1
	s_cbranch_execz .LBB0_27
; %bb.26:
	v_mov_b32_e32 v5, 0
	s_waitcnt lgkmcnt(0)
	v_add_f16_sdwa v9, v8, v8 dst_sel:DWORD dst_unused:UNUSED_PAD src0_sel:WORD_1 src1_sel:DWORD
	v_sub_f16_sdwa v6, v8, v8 dst_sel:DWORD dst_unused:UNUSED_PAD src0_sel:DWORD src1_sel:WORD_1
	ds_read_u16 v7, v5 offset:2186
	s_waitcnt lgkmcnt(0)
	v_xor_b32_e32 v8, 0x8000, v7
	v_mov_b32_e32 v7, 0
	ds_write_b16 v65, v9
	ds_write_b16 v5, v8 offset:2186
.LBB0_27:
	s_or_b32 exec_lo, exec_lo, s1
	v_mov_b32_e32 v17, 0
	v_perm_b32 v7, v7, v6, 0x5040100
	ds_write_b16 v65, v5 offset:2
	v_add_nc_u32_e32 v4, v15, v4
	s_waitcnt lgkmcnt(1)
	v_lshlrev_b64 v[8:9], 2, v[16:17]
	v_mov_b32_e32 v31, v17
	ds_write_b32 v3, v7 offset:4368
	v_mov_b32_e32 v24, v17
	v_add_co_u32 v8, s1, s4, v8
	v_add_co_ci_u32_e64 v9, s1, s5, v9, s1
	global_load_dword v10, v[8:9], off
	v_lshlrev_b64 v[8:9], 2, v[30:31]
	v_mov_b32_e32 v30, v17
	v_add_co_u32 v8, s1, s4, v8
	v_add_co_ci_u32_e64 v9, s1, s5, v9, s1
	global_load_dword v11, v[8:9], off
	v_lshlrev_b64 v[8:9], 2, v[29:30]
	;; [unrolled: 5-line block ×4, first 2 shown]
	v_mov_b32_e32 v27, v17
	ds_read_b32 v28, v19
	v_add_co_u32 v8, s1, s4, v8
	v_add_co_ci_u32_e64 v9, s1, s5, v9, s1
	v_lshlrev_b64 v[5:6], 2, v[26:27]
	ds_read_b32 v27, v3 offset:4160
	v_mov_b32_e32 v26, v17
	global_load_dword v9, v[8:9], off
	v_add_co_u32 v5, s1, s4, v5
	v_add_co_ci_u32_e64 v6, s1, s5, v6, s1
	global_load_dword v29, v[5:6], off
	v_lshlrev_b64 v[5:6], 2, v[23:24]
	v_lshlrev_b64 v[7:8], 2, v[25:26]
	v_add_co_u32 v5, s1, s4, v5
	s_waitcnt lgkmcnt(0)
	v_pk_add_f16 v23, v28, v27 neg_lo:[0,1] neg_hi:[0,1]
	v_pk_add_f16 v24, v28, v27
	v_add_co_ci_u32_e64 v6, s1, s5, v6, s1
	v_add_co_u32 v7, s1, s4, v7
	v_bfi_b32 v25, 0xffff, v23, v24
	v_bfi_b32 v23, 0xffff, v24, v23
	v_add_co_ci_u32_e64 v8, s1, s5, v8, s1
	v_pk_mul_f16 v24, v25, 0.5 op_sel_hi:[1,0]
	v_pk_mul_f16 v23, v23, 0.5 op_sel_hi:[1,0]
	s_clause 0x1
	global_load_dword v25, v[5:6], off
	global_load_dword v7, v[7:8], off
	s_waitcnt vmcnt(7)
	v_pk_fma_f16 v5, v10, v24, v23 op_sel:[1,0,0]
	v_pk_mul_f16 v6, v10, v24 op_sel_hi:[0,1]
	v_pk_fma_f16 v8, v10, v24, v23 op_sel:[1,0,0] neg_lo:[1,0,0] neg_hi:[1,0,0]
	v_pk_fma_f16 v10, v10, v24, v23 op_sel:[1,0,0] neg_lo:[0,0,1] neg_hi:[0,0,1]
	v_pk_add_f16 v23, v5, v6 op_sel:[0,1] op_sel_hi:[1,0]
	v_pk_add_f16 v5, v5, v6 op_sel:[0,1] op_sel_hi:[1,0] neg_lo:[0,1] neg_hi:[0,1]
	v_pk_add_f16 v8, v8, v6 op_sel:[0,1] op_sel_hi:[1,0] neg_lo:[0,1] neg_hi:[0,1]
	;; [unrolled: 1-line block ×3, first 2 shown]
	v_bfi_b32 v5, 0xffff, v23, v5
	v_mov_b32_e32 v23, v17
	v_bfi_b32 v6, 0xffff, v8, v6
	ds_write_b32 v19, v5
	ds_write_b32 v3, v6 offset:4160
	ds_read_b32 v5, v59
	ds_read_b32 v6, v3 offset:3952
	s_waitcnt lgkmcnt(0)
	v_pk_add_f16 v8, v5, v6 neg_lo:[0,1] neg_hi:[0,1]
	v_pk_add_f16 v5, v5, v6
	v_bfi_b32 v6, 0xffff, v8, v5
	v_bfi_b32 v5, 0xffff, v5, v8
	v_pk_mul_f16 v6, v6, 0.5 op_sel_hi:[1,0]
	v_pk_mul_f16 v5, v5, 0.5 op_sel_hi:[1,0]
	s_waitcnt vmcnt(6)
	v_pk_mul_f16 v10, v11, v6 op_sel_hi:[0,1]
	v_pk_fma_f16 v8, v11, v6, v5 op_sel:[1,0,0]
	v_pk_fma_f16 v19, v11, v6, v5 op_sel:[1,0,0] neg_lo:[1,0,0] neg_hi:[1,0,0]
	v_pk_fma_f16 v5, v11, v6, v5 op_sel:[1,0,0] neg_lo:[0,0,1] neg_hi:[0,0,1]
	v_pk_add_f16 v6, v8, v10 op_sel:[0,1] op_sel_hi:[1,0]
	v_pk_add_f16 v8, v8, v10 op_sel:[0,1] op_sel_hi:[1,0] neg_lo:[0,1] neg_hi:[0,1]
	v_pk_add_f16 v11, v19, v10 op_sel:[0,1] op_sel_hi:[1,0] neg_lo:[0,1] neg_hi:[0,1]
	v_pk_add_f16 v5, v5, v10 op_sel:[0,1] op_sel_hi:[1,0] neg_lo:[0,1] neg_hi:[0,1]
	v_bfi_b32 v6, 0xffff, v6, v8
	v_bfi_b32 v5, 0xffff, v11, v5
	ds_write_b32 v59, v6
	ds_write_b32 v3, v5 offset:3952
	ds_read_b32 v5, v58
	ds_read_b32 v6, v3 offset:3744
	s_waitcnt lgkmcnt(0)
	v_pk_add_f16 v8, v5, v6 neg_lo:[0,1] neg_hi:[0,1]
	v_pk_add_f16 v5, v5, v6
	v_bfi_b32 v6, 0xffff, v8, v5
	v_bfi_b32 v5, 0xffff, v5, v8
	v_pk_mul_f16 v6, v6, 0.5 op_sel_hi:[1,0]
	v_pk_mul_f16 v5, v5, 0.5 op_sel_hi:[1,0]
	s_waitcnt vmcnt(5)
	v_pk_mul_f16 v10, v13, v6 op_sel_hi:[0,1]
	v_pk_fma_f16 v8, v13, v6, v5 op_sel:[1,0,0]
	v_pk_fma_f16 v11, v13, v6, v5 op_sel:[1,0,0] neg_lo:[1,0,0] neg_hi:[1,0,0]
	v_pk_fma_f16 v5, v13, v6, v5 op_sel:[1,0,0] neg_lo:[0,0,1] neg_hi:[0,0,1]
	v_pk_add_f16 v6, v8, v10 op_sel:[0,1] op_sel_hi:[1,0]
	v_pk_add_f16 v8, v8, v10 op_sel:[0,1] op_sel_hi:[1,0] neg_lo:[0,1] neg_hi:[0,1]
	v_pk_add_f16 v11, v11, v10 op_sel:[0,1] op_sel_hi:[1,0] neg_lo:[0,1] neg_hi:[0,1]
	;; [unrolled: 1-line block ×3, first 2 shown]
	v_bfi_b32 v8, 0xffff, v6, v8
	v_bfi_b32 v10, 0xffff, v11, v5
	v_lshlrev_b64 v[5:6], 2, v[22:23]
	ds_write_b32 v58, v8
	ds_write_b32 v3, v10 offset:3744
	ds_read_b32 v8, v2
	ds_read_b32 v10, v3 offset:3536
	v_add_co_u32 v5, s1, s4, v5
	v_add_co_ci_u32_e64 v6, s1, s5, v6, s1
	global_load_dword v5, v[5:6], off
	s_waitcnt lgkmcnt(0)
	v_pk_add_f16 v6, v8, v10 neg_lo:[0,1] neg_hi:[0,1]
	v_pk_add_f16 v8, v8, v10
	v_bfi_b32 v10, 0xffff, v6, v8
	v_bfi_b32 v6, 0xffff, v8, v6
	v_pk_mul_f16 v8, v10, 0.5 op_sel_hi:[1,0]
	v_pk_mul_f16 v6, v6, 0.5 op_sel_hi:[1,0]
	s_waitcnt vmcnt(5)
	v_pk_mul_f16 v11, v16, v8 op_sel_hi:[0,1]
	v_pk_fma_f16 v10, v16, v8, v6 op_sel:[1,0,0]
	v_pk_fma_f16 v13, v16, v8, v6 op_sel:[1,0,0] neg_lo:[1,0,0] neg_hi:[1,0,0]
	v_pk_fma_f16 v6, v16, v8, v6 op_sel:[1,0,0] neg_lo:[0,0,1] neg_hi:[0,0,1]
	v_pk_add_f16 v8, v10, v11 op_sel:[0,1] op_sel_hi:[1,0]
	v_pk_add_f16 v10, v10, v11 op_sel:[0,1] op_sel_hi:[1,0] neg_lo:[0,1] neg_hi:[0,1]
	v_pk_add_f16 v13, v13, v11 op_sel:[0,1] op_sel_hi:[1,0] neg_lo:[0,1] neg_hi:[0,1]
	v_pk_add_f16 v6, v6, v11 op_sel:[0,1] op_sel_hi:[1,0] neg_lo:[0,1] neg_hi:[0,1]
	v_bfi_b32 v8, 0xffff, v8, v10
	v_bfi_b32 v6, 0xffff, v13, v6
	ds_write_b32 v2, v8
	ds_write_b32 v3, v6 offset:3536
	ds_read_b32 v2, v1
	ds_read_b32 v6, v3 offset:3328
	s_waitcnt lgkmcnt(0)
	v_pk_add_f16 v8, v2, v6 neg_lo:[0,1] neg_hi:[0,1]
	v_pk_add_f16 v2, v2, v6
	v_bfi_b32 v6, 0xffff, v8, v2
	v_bfi_b32 v2, 0xffff, v2, v8
	v_pk_mul_f16 v6, v6, 0.5 op_sel_hi:[1,0]
	v_pk_mul_f16 v2, v2, 0.5 op_sel_hi:[1,0]
	s_waitcnt vmcnt(4)
	v_pk_mul_f16 v10, v9, v6 op_sel_hi:[0,1]
	v_pk_fma_f16 v8, v9, v6, v2 op_sel:[1,0,0]
	v_pk_fma_f16 v11, v9, v6, v2 op_sel:[1,0,0] neg_lo:[1,0,0] neg_hi:[1,0,0]
	v_pk_fma_f16 v2, v9, v6, v2 op_sel:[1,0,0] neg_lo:[0,0,1] neg_hi:[0,0,1]
	v_pk_add_f16 v6, v8, v10 op_sel:[0,1] op_sel_hi:[1,0]
	v_pk_add_f16 v8, v8, v10 op_sel:[0,1] op_sel_hi:[1,0] neg_lo:[0,1] neg_hi:[0,1]
	v_pk_add_f16 v9, v11, v10 op_sel:[0,1] op_sel_hi:[1,0] neg_lo:[0,1] neg_hi:[0,1]
	v_pk_add_f16 v2, v2, v10 op_sel:[0,1] op_sel_hi:[1,0] neg_lo:[0,1] neg_hi:[0,1]
	v_bfi_b32 v6, 0xffff, v6, v8
	v_bfi_b32 v2, 0xffff, v9, v2
	ds_write_b32 v1, v6
	ds_write_b32 v3, v2 offset:3328
	ds_read_b32 v1, v57
	ds_read_b32 v2, v3 offset:3120
	;; [unrolled: 22-line block ×5, first 2 shown]
	s_waitcnt lgkmcnt(0)
	v_pk_add_f16 v2, v0, v1 neg_lo:[0,1] neg_hi:[0,1]
	v_pk_add_f16 v0, v0, v1
	v_bfi_b32 v1, 0xffff, v2, v0
	v_bfi_b32 v0, 0xffff, v0, v2
	v_pk_mul_f16 v1, v1, 0.5 op_sel_hi:[1,0]
	v_pk_mul_f16 v0, v0, 0.5 op_sel_hi:[1,0]
	s_waitcnt vmcnt(0)
	v_pk_fma_f16 v2, v5, v1, v0 op_sel:[1,0,0]
	v_pk_mul_f16 v4, v5, v1 op_sel_hi:[0,1]
	v_pk_fma_f16 v6, v5, v1, v0 op_sel:[1,0,0] neg_lo:[1,0,0] neg_hi:[1,0,0]
	v_pk_fma_f16 v0, v5, v1, v0 op_sel:[1,0,0] neg_lo:[0,0,1] neg_hi:[0,0,1]
	v_pk_add_f16 v1, v2, v4 op_sel:[0,1] op_sel_hi:[1,0]
	v_pk_add_f16 v2, v2, v4 op_sel:[0,1] op_sel_hi:[1,0] neg_lo:[0,1] neg_hi:[0,1]
	v_pk_add_f16 v5, v6, v4 op_sel:[0,1] op_sel_hi:[1,0] neg_lo:[0,1] neg_hi:[0,1]
	;; [unrolled: 1-line block ×3, first 2 shown]
	v_bfi_b32 v1, 0xffff, v1, v2
	v_bfi_b32 v0, 0xffff, v5, v0
	ds_write_b32 v56, v1
	ds_write_b32 v3, v0 offset:2496
	s_and_saveexec_b32 s1, s0
	s_cbranch_execz .LBB0_29
; %bb.28:
	v_mov_b32_e32 v19, v17
	v_lshlrev_b64 v[0:1], 2, v[18:19]
	v_add_co_u32 v0, s0, s4, v0
	v_add_co_ci_u32_e64 v1, s0, s5, v1, s0
	global_load_dword v0, v[0:1], off
	ds_read_b32 v1, v66
	ds_read_b32 v2, v3 offset:2288
	s_waitcnt lgkmcnt(0)
	v_pk_add_f16 v4, v1, v2 neg_lo:[0,1] neg_hi:[0,1]
	v_pk_add_f16 v1, v1, v2
	v_bfi_b32 v2, 0xffff, v4, v1
	v_bfi_b32 v1, 0xffff, v1, v4
	v_pk_mul_f16 v2, v2, 0.5 op_sel_hi:[1,0]
	v_pk_mul_f16 v1, v1, 0.5 op_sel_hi:[1,0]
	s_waitcnt vmcnt(0)
	v_pk_fma_f16 v4, v0, v2, v1 op_sel:[1,0,0]
	v_pk_mul_f16 v5, v0, v2 op_sel_hi:[0,1]
	v_pk_fma_f16 v6, v0, v2, v1 op_sel:[1,0,0] neg_lo:[1,0,0] neg_hi:[1,0,0]
	v_pk_fma_f16 v0, v0, v2, v1 op_sel:[1,0,0] neg_lo:[0,0,1] neg_hi:[0,0,1]
	v_pk_add_f16 v1, v4, v5 op_sel:[0,1] op_sel_hi:[1,0]
	v_pk_add_f16 v2, v4, v5 op_sel:[0,1] op_sel_hi:[1,0] neg_lo:[0,1] neg_hi:[0,1]
	v_pk_add_f16 v4, v6, v5 op_sel:[0,1] op_sel_hi:[1,0] neg_lo:[0,1] neg_hi:[0,1]
	;; [unrolled: 1-line block ×3, first 2 shown]
	v_bfi_b32 v1, 0xffff, v1, v2
	v_bfi_b32 v0, 0xffff, v4, v0
	ds_write_b32 v66, v1
	ds_write_b32 v3, v0 offset:2288
.LBB0_29:
	s_or_b32 exec_lo, exec_lo, s1
	s_waitcnt lgkmcnt(0)
	s_barrier
	buffer_gl0_inv
	s_and_saveexec_b32 s0, vcc_lo
	s_cbranch_execz .LBB0_32
; %bb.30:
	v_add_nc_u32_e32 v0, 0x200, v65
	v_add_nc_u32_e32 v15, 0x400, v65
	ds_read2_b32 v[2:3], v65 offset1:52
	ds_read2_b32 v[4:5], v65 offset0:104 offset1:156
	v_mov_b32_e32 v13, 0
	ds_read2_b32 v[8:9], v0 offset0:80 offset1:132
	ds_read2_b32 v[10:11], v15 offset0:56 offset1:108
	;; [unrolled: 1-line block ×3, first 2 shown]
	v_add_co_u32 v0, vcc_lo, s2, v20
	v_lshlrev_b64 v[6:7], 2, v[12:13]
	v_add_co_ci_u32_e32 v1, vcc_lo, s3, v21, vcc_lo
	v_add_nc_u32_e32 v19, 0x800, v65
	v_add_nc_u32_e32 v20, 0xa00, v65
	;; [unrolled: 1-line block ×3, first 2 shown]
	v_add_co_u32 v6, vcc_lo, v0, v6
	v_add_co_ci_u32_e32 v7, vcc_lo, v1, v7, vcc_lo
	ds_read2_b32 v[17:18], v19 offset0:8 offset1:60
	s_waitcnt lgkmcnt(5)
	global_store_dword v[6:7], v2, off
	global_store_dword v[6:7], v3, off offset:208
	s_waitcnt lgkmcnt(4)
	global_store_dword v[6:7], v4, off offset:416
	global_store_dword v[6:7], v5, off offset:624
	s_waitcnt lgkmcnt(3)
	global_store_dword v[6:7], v8, off offset:832
	;; [unrolled: 3-line block ×3, first 2 shown]
	ds_read2_b32 v[2:3], v19 offset0:112 offset1:164
	ds_read2_b32 v[4:5], v20 offset0:88 offset1:140
	;; [unrolled: 1-line block ×3, first 2 shown]
	s_waitcnt lgkmcnt(4)
	global_store_dword v[6:7], v15, off offset:1664
	v_mov_b32_e32 v15, v13
	ds_read2_b32 v[19:20], v21 offset0:168 offset1:220
	global_store_dword v[6:7], v16, off offset:1872
	ds_read_b32 v16, v65 offset:4160
	v_add_co_u32 v10, vcc_lo, 0x800, v6
	v_lshlrev_b64 v[14:15], 2, v[14:15]
	global_store_dword v[6:7], v11, off offset:1456
	v_add_co_ci_u32_e32 v11, vcc_lo, 0, v7, vcc_lo
	s_waitcnt lgkmcnt(5)
	global_store_dword v[10:11], v17, off offset:32
	global_store_dword v[10:11], v18, off offset:240
	v_add_co_u32 v14, vcc_lo, v0, v14
	v_add_co_ci_u32_e32 v15, vcc_lo, v1, v15, vcc_lo
	s_waitcnt lgkmcnt(4)
	global_store_dword v[10:11], v2, off offset:448
	global_store_dword v[10:11], v3, off offset:656
	s_waitcnt lgkmcnt(3)
	global_store_dword v[10:11], v4, off offset:864
	global_store_dword v[10:11], v5, off offset:1072
	s_waitcnt lgkmcnt(2)
	global_store_dword v[14:15], v8, off
	v_add_co_u32 v2, vcc_lo, 0x1000, v6
	v_add_co_ci_u32_e32 v3, vcc_lo, 0, v7, vcc_lo
	v_cmp_eq_u32_e32 vcc_lo, 51, v12
	global_store_dword v[10:11], v9, off offset:1488
	s_waitcnt lgkmcnt(1)
	global_store_dword v[10:11], v19, off offset:1696
	global_store_dword v[10:11], v20, off offset:1904
	s_waitcnt lgkmcnt(0)
	global_store_dword v[2:3], v16, off offset:64
	s_and_b32 exec_lo, exec_lo, vcc_lo
	s_cbranch_execz .LBB0_32
; %bb.31:
	ds_read_b32 v2, v13 offset:4368
	v_add_co_u32 v0, vcc_lo, 0x1000, v0
	v_add_co_ci_u32_e32 v1, vcc_lo, 0, v1, vcc_lo
	s_waitcnt lgkmcnt(0)
	global_store_dword v[0:1], v2, off offset:272
.LBB0_32:
	s_endpgm
	.section	.rodata,"a",@progbits
	.p2align	6, 0x0
	.amdhsa_kernel fft_rtc_fwd_len1092_factors_2_2_13_7_3_wgs_52_tpt_52_halfLds_half_ip_CI_unitstride_sbrr_R2C_dirReg
		.amdhsa_group_segment_fixed_size 0
		.amdhsa_private_segment_fixed_size 0
		.amdhsa_kernarg_size 88
		.amdhsa_user_sgpr_count 6
		.amdhsa_user_sgpr_private_segment_buffer 1
		.amdhsa_user_sgpr_dispatch_ptr 0
		.amdhsa_user_sgpr_queue_ptr 0
		.amdhsa_user_sgpr_kernarg_segment_ptr 1
		.amdhsa_user_sgpr_dispatch_id 0
		.amdhsa_user_sgpr_flat_scratch_init 0
		.amdhsa_user_sgpr_private_segment_size 0
		.amdhsa_wavefront_size32 1
		.amdhsa_uses_dynamic_stack 0
		.amdhsa_system_sgpr_private_segment_wavefront_offset 0
		.amdhsa_system_sgpr_workgroup_id_x 1
		.amdhsa_system_sgpr_workgroup_id_y 0
		.amdhsa_system_sgpr_workgroup_id_z 0
		.amdhsa_system_sgpr_workgroup_info 0
		.amdhsa_system_vgpr_workitem_id 0
		.amdhsa_next_free_vgpr 221
		.amdhsa_next_free_sgpr 21
		.amdhsa_reserve_vcc 1
		.amdhsa_reserve_flat_scratch 0
		.amdhsa_float_round_mode_32 0
		.amdhsa_float_round_mode_16_64 0
		.amdhsa_float_denorm_mode_32 3
		.amdhsa_float_denorm_mode_16_64 3
		.amdhsa_dx10_clamp 1
		.amdhsa_ieee_mode 1
		.amdhsa_fp16_overflow 0
		.amdhsa_workgroup_processor_mode 1
		.amdhsa_memory_ordered 1
		.amdhsa_forward_progress 0
		.amdhsa_shared_vgpr_count 0
		.amdhsa_exception_fp_ieee_invalid_op 0
		.amdhsa_exception_fp_denorm_src 0
		.amdhsa_exception_fp_ieee_div_zero 0
		.amdhsa_exception_fp_ieee_overflow 0
		.amdhsa_exception_fp_ieee_underflow 0
		.amdhsa_exception_fp_ieee_inexact 0
		.amdhsa_exception_int_div_zero 0
	.end_amdhsa_kernel
	.text
.Lfunc_end0:
	.size	fft_rtc_fwd_len1092_factors_2_2_13_7_3_wgs_52_tpt_52_halfLds_half_ip_CI_unitstride_sbrr_R2C_dirReg, .Lfunc_end0-fft_rtc_fwd_len1092_factors_2_2_13_7_3_wgs_52_tpt_52_halfLds_half_ip_CI_unitstride_sbrr_R2C_dirReg
                                        ; -- End function
	.section	.AMDGPU.csdata,"",@progbits
; Kernel info:
; codeLenInByte = 18036
; NumSgprs: 23
; NumVgprs: 221
; ScratchSize: 0
; MemoryBound: 0
; FloatMode: 240
; IeeeMode: 1
; LDSByteSize: 0 bytes/workgroup (compile time only)
; SGPRBlocks: 2
; VGPRBlocks: 27
; NumSGPRsForWavesPerEU: 23
; NumVGPRsForWavesPerEU: 221
; Occupancy: 4
; WaveLimiterHint : 1
; COMPUTE_PGM_RSRC2:SCRATCH_EN: 0
; COMPUTE_PGM_RSRC2:USER_SGPR: 6
; COMPUTE_PGM_RSRC2:TRAP_HANDLER: 0
; COMPUTE_PGM_RSRC2:TGID_X_EN: 1
; COMPUTE_PGM_RSRC2:TGID_Y_EN: 0
; COMPUTE_PGM_RSRC2:TGID_Z_EN: 0
; COMPUTE_PGM_RSRC2:TIDIG_COMP_CNT: 0
	.text
	.p2alignl 6, 3214868480
	.fill 48, 4, 3214868480
	.type	__hip_cuid_958d3edeac9af3df,@object ; @__hip_cuid_958d3edeac9af3df
	.section	.bss,"aw",@nobits
	.globl	__hip_cuid_958d3edeac9af3df
__hip_cuid_958d3edeac9af3df:
	.byte	0                               ; 0x0
	.size	__hip_cuid_958d3edeac9af3df, 1

	.ident	"AMD clang version 19.0.0git (https://github.com/RadeonOpenCompute/llvm-project roc-6.4.0 25133 c7fe45cf4b819c5991fe208aaa96edf142730f1d)"
	.section	".note.GNU-stack","",@progbits
	.addrsig
	.addrsig_sym __hip_cuid_958d3edeac9af3df
	.amdgpu_metadata
---
amdhsa.kernels:
  - .args:
      - .actual_access:  read_only
        .address_space:  global
        .offset:         0
        .size:           8
        .value_kind:     global_buffer
      - .offset:         8
        .size:           8
        .value_kind:     by_value
      - .actual_access:  read_only
        .address_space:  global
        .offset:         16
        .size:           8
        .value_kind:     global_buffer
      - .actual_access:  read_only
        .address_space:  global
        .offset:         24
        .size:           8
        .value_kind:     global_buffer
      - .offset:         32
        .size:           8
        .value_kind:     by_value
      - .actual_access:  read_only
        .address_space:  global
        .offset:         40
        .size:           8
        .value_kind:     global_buffer
      - .actual_access:  read_only
        .address_space:  global
        .offset:         48
        .size:           8
        .value_kind:     global_buffer
      - .offset:         56
        .size:           4
        .value_kind:     by_value
      - .actual_access:  read_only
        .address_space:  global
        .offset:         64
        .size:           8
        .value_kind:     global_buffer
      - .actual_access:  read_only
        .address_space:  global
        .offset:         72
        .size:           8
        .value_kind:     global_buffer
      - .address_space:  global
        .offset:         80
        .size:           8
        .value_kind:     global_buffer
    .group_segment_fixed_size: 0
    .kernarg_segment_align: 8
    .kernarg_segment_size: 88
    .language:       OpenCL C
    .language_version:
      - 2
      - 0
    .max_flat_workgroup_size: 52
    .name:           fft_rtc_fwd_len1092_factors_2_2_13_7_3_wgs_52_tpt_52_halfLds_half_ip_CI_unitstride_sbrr_R2C_dirReg
    .private_segment_fixed_size: 0
    .sgpr_count:     23
    .sgpr_spill_count: 0
    .symbol:         fft_rtc_fwd_len1092_factors_2_2_13_7_3_wgs_52_tpt_52_halfLds_half_ip_CI_unitstride_sbrr_R2C_dirReg.kd
    .uniform_work_group_size: 1
    .uses_dynamic_stack: false
    .vgpr_count:     221
    .vgpr_spill_count: 0
    .wavefront_size: 32
    .workgroup_processor_mode: 1
amdhsa.target:   amdgcn-amd-amdhsa--gfx1030
amdhsa.version:
  - 1
  - 2
...

	.end_amdgpu_metadata
